;; amdgpu-corpus repo=pytorch/pytorch kind=compiled arch=gfx1030 opt=O3
	.amdgcn_target "amdgcn-amd-amdhsa--gfx1030"
	.amdhsa_code_object_version 6
	.section	.text._ZN2at6native13im2col_kernelIdEEvlPKT_llllllllllllPS2_,"axG",@progbits,_ZN2at6native13im2col_kernelIdEEvlPKT_llllllllllllPS2_,comdat
	.protected	_ZN2at6native13im2col_kernelIdEEvlPKT_llllllllllllPS2_ ; -- Begin function _ZN2at6native13im2col_kernelIdEEvlPKT_llllllllllllPS2_
	.globl	_ZN2at6native13im2col_kernelIdEEvlPKT_llllllllllllPS2_
	.p2align	8
	.type	_ZN2at6native13im2col_kernelIdEEvlPKT_llllllllllllPS2_,@function
_ZN2at6native13im2col_kernelIdEEvlPKT_llllllllllllPS2_: ; @_ZN2at6native13im2col_kernelIdEEvlPKT_llllllllllllPS2_
; %bb.0:
	s_clause 0x1
	s_load_dword s2, s[4:5], 0x84
	s_load_dwordx16 s[8:23], s[4:5], 0x0
	v_mov_b32_e32 v2, 0
	s_add_u32 s0, s4, 0x78
	s_addc_u32 s1, s5, 0
	s_mov_b32 s3, exec_lo
	v_mov_b32_e32 v1, v2
	s_waitcnt lgkmcnt(0)
	s_and_b32 s2, s2, 0xffff
	v_mad_u64_u32 v[0:1], null, s2, s6, v[0:1]
	v_cmpx_gt_i64_e64 s[8:9], v[0:1]
	s_cbranch_execz .LBB0_19
; %bb.1:
	s_load_dwordx8 s[24:31], s[4:5], 0x60
	s_load_dword s3, s[0:1], 0x0
	s_load_dwordx8 s[36:43], s[4:5], 0x40
	s_lshl_b64 s[0:1], s[22:23], 3
	v_cmp_gt_i64_e64 s33, s[16:17], 0
	v_cmp_gt_i64_e64 s50, s[18:19], 0
	s_mov_b32 s51, 0
	s_waitcnt lgkmcnt(0)
	v_cvt_f32_u32_e32 v3, s26
	s_mul_i32 s4, s18, s25
	s_mul_hi_u32 s5, s18, s24
	s_mul_i32 s6, s19, s24
	s_mul_i32 s7, s18, s24
	v_rcp_iflag_f32_e32 v3, v3
	s_add_i32 s4, s5, s4
	s_mul_i32 s5, s7, s17
	s_mul_hi_u32 s35, s7, s16
	s_add_i32 s4, s4, s6
	s_add_i32 s5, s35, s5
	s_mul_i32 s4, s4, s16
	s_mul_i32 s52, s3, s2
	s_add_i32 s54, s5, s4
	s_sub_u32 s0, 0, s0
	s_mul_i32 s2, s40, s15
	s_mul_hi_u32 s3, s40, s14
	s_subb_u32 s1, 0, s1
	v_mul_f32_e32 v3, 0x4f7ffffe, v3
	s_add_u32 s55, s10, s0
	s_mul_i32 s30, s41, s14
	s_mul_i32 s31, s26, s25
	s_mul_hi_u32 s34, s26, s24
	s_addc_u32 s56, s11, s1
	s_add_i32 s0, s3, s2
	s_add_i32 s2, s34, s31
	s_add_i32 s1, s0, s30
	s_mul_i32 s0, s40, s14
	s_mul_i32 s3, s27, s24
	v_cvt_u32_f32_e32 v17, v3
	s_lshl_b64 s[10:11], s[0:1], 3
	s_add_i32 s1, s2, s3
	s_mul_i32 s0, s26, s24
	s_mul_i32 s53, s7, s16
	s_lshl_b64 s[4:5], s[14:15], 3
	s_lshl_b64 s[6:7], s[38:39], 3
	;; [unrolled: 1-line block ×4, first 2 shown]
	s_ashr_i32 s44, s27, 31
	s_branch .LBB0_3
.LBB0_2:                                ;   in Loop: Header=BB0_3 Depth=1
	v_add_co_u32 v0, vcc_lo, v0, s52
	v_add_co_ci_u32_e64 v1, null, 0, v1, vcc_lo
	v_cmp_le_i64_e32 vcc_lo, s[8:9], v[0:1]
	s_or_b32 s51, vcc_lo, s51
	s_andn2_b32 exec_lo, exec_lo, s51
	s_cbranch_execz .LBB0_19
.LBB0_3:                                ; =>This Loop Header: Depth=1
                                        ;     Child Loop BB0_14 Depth 2
                                        ;       Child Loop BB0_17 Depth 3
	v_or_b32_e32 v3, s27, v1
                                        ; implicit-def: $vgpr4_vgpr5
	s_mov_b32 s0, exec_lo
	v_cmpx_ne_u64_e32 0, v[2:3]
	s_xor_b32 s1, exec_lo, s0
	s_cbranch_execz .LBB0_5
; %bb.4:                                ;   in Loop: Header=BB0_3 Depth=1
	s_add_u32 s2, s26, s44
	s_mov_b32 s45, s44
	s_addc_u32 s3, s27, s44
	v_ashrrev_i32_e32 v9, 31, v1
	s_xor_b64 s[2:3], s[2:3], s[44:45]
	v_cvt_f32_u32_e32 v3, s2
	v_cvt_f32_u32_e32 v4, s3
	s_sub_u32 s0, 0, s2
	s_subb_u32 s47, 0, s3
	v_add_co_u32 v5, vcc_lo, v0, v9
	v_fmac_f32_e32 v3, 0x4f800000, v4
	v_xor_b32_e32 v10, v5, v9
	v_rcp_f32_e32 v3, v3
	v_mul_f32_e32 v3, 0x5f7ffffc, v3
	v_mul_f32_e32 v4, 0x2f800000, v3
	v_trunc_f32_e32 v4, v4
	v_fmac_f32_e32 v3, 0xcf800000, v4
	v_cvt_u32_f32_e32 v4, v4
	v_cvt_u32_f32_e32 v3, v3
	v_readfirstlane_b32 s45, v4
	v_readfirstlane_b32 s46, v3
	s_mul_i32 s48, s0, s45
	v_add_co_ci_u32_e64 v3, null, v1, v9, vcc_lo
	s_mul_hi_u32 s57, s0, s46
	s_mul_i32 s49, s47, s46
	s_add_i32 s48, s57, s48
	s_mul_i32 s58, s0, s46
	s_add_i32 s48, s48, s49
	s_mul_hi_u32 s57, s46, s58
	s_mul_i32 s60, s46, s48
	s_mul_hi_u32 s59, s45, s58
	s_mul_i32 s49, s45, s58
	s_mul_hi_u32 s58, s46, s48
	s_add_u32 s57, s57, s60
	s_addc_u32 s58, 0, s58
	s_mul_hi_u32 s61, s45, s48
	s_add_u32 s49, s57, s49
	s_mul_i32 s48, s45, s48
	s_addc_u32 s49, s58, s59
	s_addc_u32 s57, s61, 0
	s_add_u32 s48, s49, s48
	s_addc_u32 s49, 0, s57
	s_add_u32 s46, s46, s48
	s_cselect_b32 s48, -1, 0
	s_mul_hi_u32 s57, s0, s46
	s_cmp_lg_u32 s48, 0
	s_mul_i32 s48, s0, s46
	s_addc_u32 s45, s45, s49
	s_mul_i32 s47, s47, s46
	s_mul_i32 s0, s0, s45
	s_mul_hi_u32 s49, s46, s48
	s_add_i32 s0, s57, s0
	s_mul_hi_u32 s57, s45, s48
	s_add_i32 s0, s0, s47
	s_mul_i32 s47, s45, s48
	s_mul_i32 s59, s46, s0
	s_mul_hi_u32 s58, s46, s0
	s_add_u32 s49, s49, s59
	s_addc_u32 s58, 0, s58
	s_mul_hi_u32 s48, s45, s0
	s_add_u32 s47, s49, s47
	s_mul_i32 s0, s45, s0
	s_addc_u32 s47, s58, s57
	s_addc_u32 s48, s48, 0
	s_add_u32 s0, s47, s0
	s_addc_u32 s47, 0, s48
	s_add_u32 s0, s46, s0
	s_cselect_b32 s46, -1, 0
	v_xor_b32_e32 v11, v3, v9
	s_cmp_lg_u32 s46, 0
	v_mul_hi_u32 v12, v10, s0
	s_addc_u32 s45, s45, s47
	v_mad_u64_u32 v[3:4], null, v10, s45, 0
	v_mad_u64_u32 v[5:6], null, v11, s0, 0
	;; [unrolled: 1-line block ×3, first 2 shown]
	v_add_co_u32 v3, vcc_lo, v12, v3
	v_add_co_ci_u32_e64 v4, null, 0, v4, vcc_lo
	v_add_co_u32 v3, vcc_lo, v3, v5
	v_add_co_ci_u32_e32 v3, vcc_lo, v4, v6, vcc_lo
	v_add_co_ci_u32_e32 v4, vcc_lo, 0, v8, vcc_lo
	v_add_co_u32 v5, vcc_lo, v3, v7
	v_add_co_ci_u32_e64 v6, null, 0, v4, vcc_lo
	v_mul_lo_u32 v7, s3, v5
	v_mad_u64_u32 v[3:4], null, s2, v5, 0
	v_mul_lo_u32 v8, s2, v6
	v_sub_co_u32 v3, vcc_lo, v10, v3
	v_add3_u32 v4, v4, v8, v7
	v_add_co_u32 v8, s0, v5, 2
	v_add_co_ci_u32_e64 v10, null, 0, v6, s0
	v_sub_nc_u32_e32 v7, v11, v4
	v_sub_co_u32 v12, s0, v3, s2
	v_sub_co_ci_u32_e64 v4, null, v11, v4, vcc_lo
	v_subrev_co_ci_u32_e64 v7, null, s3, v7, vcc_lo
	v_cmp_le_u32_e32 vcc_lo, s2, v12
	v_subrev_co_ci_u32_e64 v7, null, 0, v7, s0
	v_cndmask_b32_e64 v11, 0, -1, vcc_lo
	v_cmp_le_u32_e32 vcc_lo, s3, v7
	v_cndmask_b32_e64 v12, 0, -1, vcc_lo
	v_cmp_le_u32_e32 vcc_lo, s2, v3
	;; [unrolled: 2-line block ×3, first 2 shown]
	v_cndmask_b32_e64 v13, 0, -1, vcc_lo
	v_cmp_eq_u32_e32 vcc_lo, s3, v7
	v_cndmask_b32_e32 v7, v12, v11, vcc_lo
	v_add_co_u32 v11, vcc_lo, v5, 1
	v_add_co_ci_u32_e64 v12, null, 0, v6, vcc_lo
	v_cmp_eq_u32_e32 vcc_lo, s3, v4
	v_cndmask_b32_e32 v3, v13, v3, vcc_lo
	v_cmp_ne_u32_e32 vcc_lo, 0, v7
	v_xor_b32_e32 v7, s44, v9
	v_cmp_ne_u32_e64 s0, 0, v3
	v_cndmask_b32_e32 v3, v11, v8, vcc_lo
	v_cndmask_b32_e32 v4, v12, v10, vcc_lo
	v_cndmask_b32_e64 v3, v5, v3, s0
	v_cndmask_b32_e64 v4, v6, v4, s0
	v_xor_b32_e32 v3, v3, v7
	v_xor_b32_e32 v5, v4, v7
	v_sub_co_u32 v4, vcc_lo, v3, v7
	v_sub_co_ci_u32_e64 v5, null, v5, v7, vcc_lo
.LBB0_5:                                ;   in Loop: Header=BB0_3 Depth=1
	s_andn2_saveexec_b32 s0, s1
	s_cbranch_execz .LBB0_7
; %bb.6:                                ;   in Loop: Header=BB0_3 Depth=1
	s_sub_i32 s1, 0, s26
	v_mul_lo_u32 v3, s1, v17
	v_mul_hi_u32 v3, v17, v3
	v_add_nc_u32_e32 v3, v17, v3
	v_mul_hi_u32 v3, v0, v3
	v_mul_lo_u32 v4, v3, s26
	v_add_nc_u32_e32 v5, 1, v3
	v_sub_nc_u32_e32 v4, v0, v4
	v_subrev_nc_u32_e32 v6, s26, v4
	v_cmp_le_u32_e32 vcc_lo, s26, v4
	v_cndmask_b32_e32 v4, v4, v6, vcc_lo
	v_cndmask_b32_e32 v3, v3, v5, vcc_lo
	v_cmp_le_u32_e32 vcc_lo, s26, v4
	v_add_nc_u32_e32 v5, 1, v3
	v_cndmask_b32_e32 v4, v3, v5, vcc_lo
	v_mov_b32_e32 v5, v2
.LBB0_7:                                ;   in Loop: Header=BB0_3 Depth=1
	s_or_b32 exec_lo, exec_lo, s0
	v_or_b32_e32 v3, s25, v5
                                        ; implicit-def: $vgpr6_vgpr7
	s_mov_b32 s0, exec_lo
	v_cmpx_ne_u64_e32 0, v[2:3]
	s_xor_b32 s1, exec_lo, s0
	s_cbranch_execnz .LBB0_10
; %bb.8:                                ;   in Loop: Header=BB0_3 Depth=1
	s_andn2_saveexec_b32 s0, s1
	s_cbranch_execnz .LBB0_11
.LBB0_9:                                ;   in Loop: Header=BB0_3 Depth=1
	s_or_b32 exec_lo, exec_lo, s0
	s_andn2_b32 vcc_lo, exec_lo, s33
	s_cbranch_vccz .LBB0_12
	s_branch .LBB0_2
.LBB0_10:                               ;   in Loop: Header=BB0_3 Depth=1
	s_ashr_i32 s2, s25, 31
	v_ashrrev_i32_e32 v12, 31, v5
	s_add_u32 s46, s24, s2
	s_mov_b32 s3, s2
	s_addc_u32 s47, s25, s2
	s_xor_b64 s[46:47], s[46:47], s[2:3]
	v_add_co_u32 v7, vcc_lo, v4, v12
	v_cvt_f32_u32_e32 v3, s46
	v_cvt_f32_u32_e32 v6, s47
	s_sub_u32 s45, 0, s46
	s_subb_u32 s48, 0, s47
	v_add_co_ci_u32_e64 v8, null, v5, v12, vcc_lo
	v_fmac_f32_e32 v3, 0x4f800000, v6
	v_xor_b32_e32 v13, v8, v12
	v_rcp_f32_e32 v3, v3
	v_mul_f32_e32 v3, 0x5f7ffffc, v3
	v_mul_f32_e32 v6, 0x2f800000, v3
	v_trunc_f32_e32 v6, v6
	v_fmac_f32_e32 v3, 0xcf800000, v6
	v_cvt_u32_f32_e32 v6, v6
	v_cvt_u32_f32_e32 v3, v3
	v_readfirstlane_b32 s0, v6
	v_readfirstlane_b32 s3, v3
	s_mul_i32 s49, s45, s0
	v_xor_b32_e32 v3, v7, v12
	s_mul_hi_u32 s58, s45, s3
	s_mul_i32 s57, s48, s3
	s_add_i32 s49, s58, s49
	s_mul_i32 s59, s45, s3
	s_add_i32 s49, s49, s57
	s_mul_hi_u32 s58, s3, s59
	s_mul_i32 s61, s3, s49
	s_mul_hi_u32 s60, s0, s59
	s_mul_i32 s57, s0, s59
	s_mul_hi_u32 s59, s3, s49
	s_add_u32 s58, s58, s61
	s_addc_u32 s59, 0, s59
	s_mul_hi_u32 s62, s0, s49
	s_add_u32 s57, s58, s57
	s_mul_i32 s49, s0, s49
	s_addc_u32 s57, s59, s60
	s_addc_u32 s58, s62, 0
	s_add_u32 s49, s57, s49
	s_addc_u32 s57, 0, s58
	s_add_u32 s3, s3, s49
	s_cselect_b32 s49, -1, 0
	s_mul_hi_u32 s58, s45, s3
	s_cmp_lg_u32 s49, 0
	s_mul_i32 s49, s45, s3
	s_addc_u32 s0, s0, s57
	s_mul_i32 s48, s48, s3
	s_mul_i32 s45, s45, s0
	s_mul_hi_u32 s57, s3, s49
	s_add_i32 s45, s58, s45
	s_mul_hi_u32 s58, s0, s49
	s_add_i32 s45, s45, s48
	s_mul_i32 s48, s0, s49
	s_mul_i32 s60, s3, s45
	s_mul_hi_u32 s59, s3, s45
	s_add_u32 s57, s57, s60
	s_addc_u32 s59, 0, s59
	s_mul_hi_u32 s49, s0, s45
	s_add_u32 s48, s57, s48
	s_mul_i32 s45, s0, s45
	s_addc_u32 s48, s59, s58
	s_addc_u32 s49, s49, 0
	s_add_u32 s45, s48, s45
	s_addc_u32 s48, 0, s49
	s_add_u32 s3, s3, s45
	s_cselect_b32 s45, -1, 0
	v_mul_hi_u32 v14, v3, s3
	s_cmp_lg_u32 s45, 0
	v_mad_u64_u32 v[8:9], null, v13, s3, 0
	s_addc_u32 s0, s0, s48
	v_mad_u64_u32 v[6:7], null, v3, s0, 0
	v_mad_u64_u32 v[10:11], null, v13, s0, 0
	v_add_co_u32 v6, vcc_lo, v14, v6
	v_add_co_ci_u32_e64 v7, null, 0, v7, vcc_lo
	v_add_co_u32 v6, vcc_lo, v6, v8
	v_add_co_ci_u32_e32 v6, vcc_lo, v7, v9, vcc_lo
	v_add_co_ci_u32_e32 v7, vcc_lo, 0, v11, vcc_lo
	v_add_co_u32 v8, vcc_lo, v6, v10
	v_add_co_ci_u32_e64 v9, null, 0, v7, vcc_lo
	v_mul_lo_u32 v10, s47, v8
	v_mad_u64_u32 v[6:7], null, s46, v8, 0
	v_mul_lo_u32 v11, s46, v9
	v_sub_co_u32 v3, vcc_lo, v3, v6
	v_add3_u32 v7, v7, v11, v10
	v_sub_nc_u32_e32 v10, v13, v7
	v_sub_co_ci_u32_e64 v7, null, v13, v7, vcc_lo
	v_subrev_co_ci_u32_e64 v6, null, s47, v10, vcc_lo
	v_add_co_u32 v10, s0, v8, 2
	v_add_co_ci_u32_e64 v11, null, 0, v9, s0
	v_sub_co_u32 v14, s0, v3, s46
	v_subrev_co_ci_u32_e64 v6, null, 0, v6, s0
	v_cmp_le_u32_e32 vcc_lo, s46, v14
	v_cndmask_b32_e64 v13, 0, -1, vcc_lo
	v_cmp_le_u32_e32 vcc_lo, s47, v6
	v_cndmask_b32_e64 v14, 0, -1, vcc_lo
	;; [unrolled: 2-line block ×4, first 2 shown]
	v_cmp_eq_u32_e32 vcc_lo, s47, v6
	v_cndmask_b32_e32 v6, v14, v13, vcc_lo
	v_add_co_u32 v13, vcc_lo, v8, 1
	v_add_co_ci_u32_e64 v14, null, 0, v9, vcc_lo
	v_cmp_eq_u32_e32 vcc_lo, s47, v7
	v_xor_b32_e32 v7, s2, v12
	v_cndmask_b32_e32 v3, v15, v3, vcc_lo
	v_cmp_ne_u32_e32 vcc_lo, 0, v6
	v_cmp_ne_u32_e64 s0, 0, v3
	v_cndmask_b32_e32 v3, v13, v10, vcc_lo
	v_cndmask_b32_e32 v6, v14, v11, vcc_lo
	v_cndmask_b32_e64 v3, v8, v3, s0
	v_cndmask_b32_e64 v6, v9, v6, s0
	v_xor_b32_e32 v3, v3, v7
	v_xor_b32_e32 v8, v6, v7
	v_sub_co_u32 v6, vcc_lo, v3, v7
	v_sub_co_ci_u32_e64 v7, null, v8, v7, vcc_lo
	s_andn2_saveexec_b32 s0, s1
	s_cbranch_execz .LBB0_9
.LBB0_11:                               ;   in Loop: Header=BB0_3 Depth=1
	v_cvt_f32_u32_e32 v3, s24
	s_sub_i32 s1, 0, s24
	v_rcp_iflag_f32_e32 v3, v3
	v_mul_f32_e32 v3, 0x4f7ffffe, v3
	v_cvt_u32_f32_e32 v3, v3
	v_mul_lo_u32 v6, s1, v3
	v_mul_hi_u32 v6, v3, v6
	v_add_nc_u32_e32 v3, v3, v6
	v_mul_hi_u32 v3, v4, v3
	v_mul_lo_u32 v6, v3, s24
	v_add_nc_u32_e32 v7, 1, v3
	v_sub_nc_u32_e32 v6, v4, v6
	v_subrev_nc_u32_e32 v8, s24, v6
	v_cmp_le_u32_e32 vcc_lo, s24, v6
	v_cndmask_b32_e32 v6, v6, v8, vcc_lo
	v_cndmask_b32_e32 v3, v3, v7, vcc_lo
	v_cmp_le_u32_e32 vcc_lo, s24, v6
	v_add_nc_u32_e32 v7, 1, v3
	v_cndmask_b32_e32 v6, v3, v7, vcc_lo
	v_mov_b32_e32 v7, v2
	s_or_b32 exec_lo, exec_lo, s0
	s_andn2_b32 vcc_lo, exec_lo, s33
	s_cbranch_vccnz .LBB0_2
.LBB0_12:                               ;   in Loop: Header=BB0_3 Depth=1
	v_mul_lo_u32 v3, v7, s24
	v_mul_lo_u32 v12, v6, s25
	v_mad_u64_u32 v[8:9], null, v6, s24, 0
	v_mul_lo_u32 v13, v5, s26
	v_mul_lo_u32 v14, v4, s27
	v_mad_u64_u32 v[10:11], null, v4, s26, 0
	v_mul_lo_u32 v15, s53, v7
	v_mul_lo_u32 v7, v7, s12
	v_add3_u32 v9, v9, v12, v3
	v_sub_co_u32 v3, vcc_lo, v4, v8
	s_mov_b64 s[46:47], 0
	v_sub_co_ci_u32_e64 v4, null, v5, v9, vcc_lo
	v_add3_u32 v5, v11, v14, v13
	v_mul_lo_u32 v14, v3, s37
	v_mad_u64_u32 v[8:9], null, v3, s36, 0
	v_mul_lo_u32 v16, v4, s36
	v_sub_co_u32 v10, vcc_lo, v0, v10
	v_sub_co_ci_u32_e64 v11, null, v1, v5, vcc_lo
	v_mul_lo_u32 v5, s54, v6
	v_mad_u64_u32 v[12:13], null, s53, v6, v[3:4]
	v_add3_u32 v4, v9, v14, v16
	v_sub_co_u32 v3, vcc_lo, v8, s20
	v_mul_lo_u32 v23, s6, v11
	v_mad_u64_u32 v[18:19], null, s6, v10, 0
	v_add3_u32 v5, v5, v13, v15
	v_subrev_co_ci_u32_e64 v4, null, s21, v4, vcc_lo
	v_mul_lo_u32 v22, v12, s27
	v_mad_u64_u32 v[15:16], null, v12, s26, 0
	v_mul_lo_u32 v5, v5, s26
	v_mad_u64_u32 v[13:14], null, v6, s12, v[3:4]
	v_mul_lo_u32 v12, s7, v10
	v_mul_lo_u32 v6, v6, s13
	;; [unrolled: 1-line block ×4, first 2 shown]
	v_mad_u64_u32 v[8:9], null, v10, s38, 0
	v_add3_u32 v16, v16, v22, v5
	v_add3_u32 v19, v19, v23, v12
	;; [unrolled: 1-line block ×3, first 2 shown]
	v_mul_lo_u32 v12, s5, v13
	v_lshlrev_b64 v[14:15], 3, v[15:16]
	v_add3_u32 v9, v9, v21, v20
	v_mad_u64_u32 v[18:19], null, s4, v13, v[18:19]
	v_mul_lo_u32 v13, s4, v5
	v_sub_co_u32 v5, vcc_lo, v8, s22
	v_lshlrev_b64 v[7:8], 3, v[10:11]
	v_subrev_co_ci_u32_e64 v6, null, s23, v9, vcc_lo
	v_add_co_u32 v9, vcc_lo, s28, v14
	v_add_co_ci_u32_e64 v10, null, s29, v15, vcc_lo
	v_add3_u32 v11, v12, v19, v13
	v_add_co_u32 v7, vcc_lo, v9, v7
	v_add_co_ci_u32_e64 v8, null, v10, v8, vcc_lo
	v_add_co_u32 v9, vcc_lo, s55, v18
	v_add_co_ci_u32_e64 v10, null, s56, v11, vcc_lo
	s_branch .LBB0_14
.LBB0_13:                               ;   in Loop: Header=BB0_14 Depth=2
	s_inst_prefetch 0x2
	v_add_co_u32 v9, vcc_lo, v9, s10
	s_add_u32 s46, s46, 1
	v_add_co_ci_u32_e64 v10, null, s11, v10, vcc_lo
	s_addc_u32 s47, s47, 0
	s_cmp_eq_u64 s[46:47], s[16:17]
	s_cbranch_scc1 .LBB0_2
.LBB0_14:                               ;   Parent Loop BB0_3 Depth=1
                                        ; =>  This Loop Header: Depth=2
                                        ;       Child Loop BB0_17 Depth 3
	s_andn2_b32 vcc_lo, exec_lo, s50
	s_cbranch_vccnz .LBB0_13
; %bb.15:                               ;   in Loop: Header=BB0_14 Depth=2
	v_mad_u64_u32 v[11:12], null, s46, s40, v[3:4]
	s_mul_i32 s0, s47, s40
	s_mul_i32 s1, s46, s41
	v_mov_b32_e32 v14, v10
	v_mov_b32_e32 v13, v9
	s_mov_b64 s[48:49], s[18:19]
	v_add3_u32 v12, s1, s0, v12
	v_cmp_lt_i64_e32 vcc_lo, -1, v[11:12]
	v_cmp_gt_i64_e64 s0, s[12:13], v[11:12]
	v_mov_b32_e32 v12, v6
	v_mov_b32_e32 v11, v5
	s_inst_prefetch 0x1
	s_branch .LBB0_17
	.p2align	6
.LBB0_16:                               ;   in Loop: Header=BB0_17 Depth=3
	s_or_b32 exec_lo, exec_lo, s1
	v_add_co_u32 v13, s1, v13, s30
	v_add_co_ci_u32_e64 v14, null, s31, v14, s1
	v_add_co_u32 v11, s1, v11, s42
	s_waitcnt vmcnt(0)
	global_store_dwordx2 v[7:8], v[15:16], off
	v_add_co_ci_u32_e64 v12, null, s43, v12, s1
	v_add_co_u32 v7, s1, v7, s34
	s_add_u32 s48, s48, -1
	v_add_co_ci_u32_e64 v8, null, s35, v8, s1
	s_addc_u32 s49, s49, -1
	s_cmp_eq_u64 s[48:49], 0
	s_cbranch_scc1 .LBB0_13
.LBB0_17:                               ;   Parent Loop BB0_3 Depth=1
                                        ;     Parent Loop BB0_14 Depth=2
                                        ; =>    This Inner Loop Header: Depth=3
	v_cmp_lt_i64_e64 s1, -1, v[11:12]
	v_cmp_gt_i64_e64 s2, s[14:15], v[11:12]
	v_mov_b32_e32 v15, 0
	v_mov_b32_e32 v16, 0
	s_and_b32 s1, vcc_lo, s1
	s_and_b32 s1, s0, s1
	s_and_b32 s2, s1, s2
	s_and_saveexec_b32 s1, s2
	s_cbranch_execz .LBB0_16
; %bb.18:                               ;   in Loop: Header=BB0_17 Depth=3
	global_load_dwordx2 v[15:16], v[13:14], off
	s_branch .LBB0_16
.LBB0_19:
	s_endpgm
	.section	.rodata,"a",@progbits
	.p2align	6, 0x0
	.amdhsa_kernel _ZN2at6native13im2col_kernelIdEEvlPKT_llllllllllllPS2_
		.amdhsa_group_segment_fixed_size 0
		.amdhsa_private_segment_fixed_size 0
		.amdhsa_kernarg_size 376
		.amdhsa_user_sgpr_count 6
		.amdhsa_user_sgpr_private_segment_buffer 1
		.amdhsa_user_sgpr_dispatch_ptr 0
		.amdhsa_user_sgpr_queue_ptr 0
		.amdhsa_user_sgpr_kernarg_segment_ptr 1
		.amdhsa_user_sgpr_dispatch_id 0
		.amdhsa_user_sgpr_flat_scratch_init 0
		.amdhsa_user_sgpr_private_segment_size 0
		.amdhsa_wavefront_size32 1
		.amdhsa_uses_dynamic_stack 0
		.amdhsa_system_sgpr_private_segment_wavefront_offset 0
		.amdhsa_system_sgpr_workgroup_id_x 1
		.amdhsa_system_sgpr_workgroup_id_y 0
		.amdhsa_system_sgpr_workgroup_id_z 0
		.amdhsa_system_sgpr_workgroup_info 0
		.amdhsa_system_vgpr_workitem_id 0
		.amdhsa_next_free_vgpr 24
		.amdhsa_next_free_sgpr 63
		.amdhsa_reserve_vcc 1
		.amdhsa_reserve_flat_scratch 0
		.amdhsa_float_round_mode_32 0
		.amdhsa_float_round_mode_16_64 0
		.amdhsa_float_denorm_mode_32 3
		.amdhsa_float_denorm_mode_16_64 3
		.amdhsa_dx10_clamp 1
		.amdhsa_ieee_mode 1
		.amdhsa_fp16_overflow 0
		.amdhsa_workgroup_processor_mode 1
		.amdhsa_memory_ordered 1
		.amdhsa_forward_progress 1
		.amdhsa_shared_vgpr_count 0
		.amdhsa_exception_fp_ieee_invalid_op 0
		.amdhsa_exception_fp_denorm_src 0
		.amdhsa_exception_fp_ieee_div_zero 0
		.amdhsa_exception_fp_ieee_overflow 0
		.amdhsa_exception_fp_ieee_underflow 0
		.amdhsa_exception_fp_ieee_inexact 0
		.amdhsa_exception_int_div_zero 0
	.end_amdhsa_kernel
	.section	.text._ZN2at6native13im2col_kernelIdEEvlPKT_llllllllllllPS2_,"axG",@progbits,_ZN2at6native13im2col_kernelIdEEvlPKT_llllllllllllPS2_,comdat
.Lfunc_end0:
	.size	_ZN2at6native13im2col_kernelIdEEvlPKT_llllllllllllPS2_, .Lfunc_end0-_ZN2at6native13im2col_kernelIdEEvlPKT_llllllllllllPS2_
                                        ; -- End function
	.set _ZN2at6native13im2col_kernelIdEEvlPKT_llllllllllllPS2_.num_vgpr, 24
	.set _ZN2at6native13im2col_kernelIdEEvlPKT_llllllllllllPS2_.num_agpr, 0
	.set _ZN2at6native13im2col_kernelIdEEvlPKT_llllllllllllPS2_.numbered_sgpr, 63
	.set _ZN2at6native13im2col_kernelIdEEvlPKT_llllllllllllPS2_.num_named_barrier, 0
	.set _ZN2at6native13im2col_kernelIdEEvlPKT_llllllllllllPS2_.private_seg_size, 0
	.set _ZN2at6native13im2col_kernelIdEEvlPKT_llllllllllllPS2_.uses_vcc, 1
	.set _ZN2at6native13im2col_kernelIdEEvlPKT_llllllllllllPS2_.uses_flat_scratch, 0
	.set _ZN2at6native13im2col_kernelIdEEvlPKT_llllllllllllPS2_.has_dyn_sized_stack, 0
	.set _ZN2at6native13im2col_kernelIdEEvlPKT_llllllllllllPS2_.has_recursion, 0
	.set _ZN2at6native13im2col_kernelIdEEvlPKT_llllllllllllPS2_.has_indirect_call, 0
	.section	.AMDGPU.csdata,"",@progbits
; Kernel info:
; codeLenInByte = 2572
; TotalNumSgprs: 65
; NumVgprs: 24
; ScratchSize: 0
; MemoryBound: 0
; FloatMode: 240
; IeeeMode: 1
; LDSByteSize: 0 bytes/workgroup (compile time only)
; SGPRBlocks: 0
; VGPRBlocks: 2
; NumSGPRsForWavesPerEU: 65
; NumVGPRsForWavesPerEU: 24
; Occupancy: 16
; WaveLimiterHint : 0
; COMPUTE_PGM_RSRC2:SCRATCH_EN: 0
; COMPUTE_PGM_RSRC2:USER_SGPR: 6
; COMPUTE_PGM_RSRC2:TRAP_HANDLER: 0
; COMPUTE_PGM_RSRC2:TGID_X_EN: 1
; COMPUTE_PGM_RSRC2:TGID_Y_EN: 0
; COMPUTE_PGM_RSRC2:TGID_Z_EN: 0
; COMPUTE_PGM_RSRC2:TIDIG_COMP_CNT: 0
	.section	.text._ZN2at6native13im2col_kernelIfEEvlPKT_llllllllllllPS2_,"axG",@progbits,_ZN2at6native13im2col_kernelIfEEvlPKT_llllllllllllPS2_,comdat
	.protected	_ZN2at6native13im2col_kernelIfEEvlPKT_llllllllllllPS2_ ; -- Begin function _ZN2at6native13im2col_kernelIfEEvlPKT_llllllllllllPS2_
	.globl	_ZN2at6native13im2col_kernelIfEEvlPKT_llllllllllllPS2_
	.p2align	8
	.type	_ZN2at6native13im2col_kernelIfEEvlPKT_llllllllllllPS2_,@function
_ZN2at6native13im2col_kernelIfEEvlPKT_llllllllllllPS2_: ; @_ZN2at6native13im2col_kernelIfEEvlPKT_llllllllllllPS2_
; %bb.0:
	s_clause 0x1
	s_load_dword s2, s[4:5], 0x84
	s_load_dwordx16 s[8:23], s[4:5], 0x0
	v_mov_b32_e32 v2, 0
	s_add_u32 s0, s4, 0x78
	s_addc_u32 s1, s5, 0
	s_mov_b32 s3, exec_lo
	v_mov_b32_e32 v1, v2
	s_waitcnt lgkmcnt(0)
	s_and_b32 s2, s2, 0xffff
	v_mad_u64_u32 v[0:1], null, s2, s6, v[0:1]
	v_cmpx_gt_i64_e64 s[8:9], v[0:1]
	s_cbranch_execz .LBB1_19
; %bb.1:
	s_load_dwordx8 s[24:31], s[4:5], 0x60
	s_load_dword s3, s[0:1], 0x0
	s_load_dwordx8 s[36:43], s[4:5], 0x40
	s_lshl_b64 s[0:1], s[22:23], 2
	v_cmp_gt_i64_e64 s33, s[16:17], 0
	v_cmp_gt_i64_e64 s50, s[18:19], 0
	s_mov_b32 s51, 0
	s_waitcnt lgkmcnt(0)
	v_cvt_f32_u32_e32 v3, s26
	s_mul_i32 s4, s18, s25
	s_mul_hi_u32 s5, s18, s24
	s_mul_i32 s6, s19, s24
	s_mul_i32 s7, s18, s24
	v_rcp_iflag_f32_e32 v3, v3
	s_add_i32 s4, s5, s4
	s_mul_i32 s5, s7, s17
	s_mul_hi_u32 s35, s7, s16
	s_add_i32 s4, s4, s6
	s_add_i32 s5, s35, s5
	s_mul_i32 s4, s4, s16
	s_mul_i32 s52, s3, s2
	s_add_i32 s54, s5, s4
	s_sub_u32 s0, 0, s0
	s_mul_i32 s2, s40, s15
	s_mul_hi_u32 s3, s40, s14
	s_subb_u32 s1, 0, s1
	v_mul_f32_e32 v3, 0x4f7ffffe, v3
	s_add_u32 s55, s10, s0
	s_mul_i32 s30, s41, s14
	s_mul_i32 s31, s26, s25
	s_mul_hi_u32 s34, s26, s24
	s_addc_u32 s56, s11, s1
	s_add_i32 s0, s3, s2
	s_add_i32 s2, s34, s31
	;; [unrolled: 1-line block ×3, first 2 shown]
	s_mul_i32 s0, s40, s14
	s_mul_i32 s3, s27, s24
	v_cvt_u32_f32_e32 v15, v3
	s_lshl_b64 s[10:11], s[0:1], 2
	s_add_i32 s1, s2, s3
	s_mul_i32 s0, s26, s24
	s_mul_i32 s53, s7, s16
	s_lshl_b64 s[4:5], s[14:15], 2
	s_lshl_b64 s[6:7], s[38:39], 2
	;; [unrolled: 1-line block ×4, first 2 shown]
	s_ashr_i32 s44, s27, 31
	s_branch .LBB1_3
.LBB1_2:                                ;   in Loop: Header=BB1_3 Depth=1
	v_add_co_u32 v0, vcc_lo, v0, s52
	v_add_co_ci_u32_e64 v1, null, 0, v1, vcc_lo
	v_cmp_le_i64_e32 vcc_lo, s[8:9], v[0:1]
	s_or_b32 s51, vcc_lo, s51
	s_andn2_b32 exec_lo, exec_lo, s51
	s_cbranch_execz .LBB1_19
.LBB1_3:                                ; =>This Loop Header: Depth=1
                                        ;     Child Loop BB1_14 Depth 2
                                        ;       Child Loop BB1_17 Depth 3
	v_or_b32_e32 v3, s27, v1
                                        ; implicit-def: $vgpr4_vgpr5
	s_mov_b32 s0, exec_lo
	v_cmpx_ne_u64_e32 0, v[2:3]
	s_xor_b32 s1, exec_lo, s0
	s_cbranch_execz .LBB1_5
; %bb.4:                                ;   in Loop: Header=BB1_3 Depth=1
	s_add_u32 s2, s26, s44
	s_mov_b32 s45, s44
	s_addc_u32 s3, s27, s44
	v_ashrrev_i32_e32 v9, 31, v1
	s_xor_b64 s[2:3], s[2:3], s[44:45]
	v_cvt_f32_u32_e32 v3, s2
	v_cvt_f32_u32_e32 v4, s3
	s_sub_u32 s0, 0, s2
	s_subb_u32 s47, 0, s3
	v_add_co_u32 v5, vcc_lo, v0, v9
	v_fmac_f32_e32 v3, 0x4f800000, v4
	v_xor_b32_e32 v10, v5, v9
	v_rcp_f32_e32 v3, v3
	v_mul_f32_e32 v3, 0x5f7ffffc, v3
	v_mul_f32_e32 v4, 0x2f800000, v3
	v_trunc_f32_e32 v4, v4
	v_fmac_f32_e32 v3, 0xcf800000, v4
	v_cvt_u32_f32_e32 v4, v4
	v_cvt_u32_f32_e32 v3, v3
	v_readfirstlane_b32 s45, v4
	v_readfirstlane_b32 s46, v3
	s_mul_i32 s48, s0, s45
	v_add_co_ci_u32_e64 v3, null, v1, v9, vcc_lo
	s_mul_hi_u32 s57, s0, s46
	s_mul_i32 s49, s47, s46
	s_add_i32 s48, s57, s48
	s_mul_i32 s58, s0, s46
	s_add_i32 s48, s48, s49
	s_mul_hi_u32 s57, s46, s58
	s_mul_i32 s60, s46, s48
	s_mul_hi_u32 s59, s45, s58
	s_mul_i32 s49, s45, s58
	s_mul_hi_u32 s58, s46, s48
	s_add_u32 s57, s57, s60
	s_addc_u32 s58, 0, s58
	s_mul_hi_u32 s61, s45, s48
	s_add_u32 s49, s57, s49
	s_mul_i32 s48, s45, s48
	s_addc_u32 s49, s58, s59
	s_addc_u32 s57, s61, 0
	s_add_u32 s48, s49, s48
	s_addc_u32 s49, 0, s57
	s_add_u32 s46, s46, s48
	s_cselect_b32 s48, -1, 0
	s_mul_hi_u32 s57, s0, s46
	s_cmp_lg_u32 s48, 0
	s_mul_i32 s48, s0, s46
	s_addc_u32 s45, s45, s49
	s_mul_i32 s47, s47, s46
	s_mul_i32 s0, s0, s45
	s_mul_hi_u32 s49, s46, s48
	s_add_i32 s0, s57, s0
	s_mul_hi_u32 s57, s45, s48
	s_add_i32 s0, s0, s47
	s_mul_i32 s47, s45, s48
	s_mul_i32 s59, s46, s0
	s_mul_hi_u32 s58, s46, s0
	s_add_u32 s49, s49, s59
	s_addc_u32 s58, 0, s58
	s_mul_hi_u32 s48, s45, s0
	s_add_u32 s47, s49, s47
	s_mul_i32 s0, s45, s0
	s_addc_u32 s47, s58, s57
	s_addc_u32 s48, s48, 0
	s_add_u32 s0, s47, s0
	s_addc_u32 s47, 0, s48
	s_add_u32 s0, s46, s0
	s_cselect_b32 s46, -1, 0
	v_xor_b32_e32 v11, v3, v9
	s_cmp_lg_u32 s46, 0
	v_mul_hi_u32 v12, v10, s0
	s_addc_u32 s45, s45, s47
	v_mad_u64_u32 v[3:4], null, v10, s45, 0
	v_mad_u64_u32 v[5:6], null, v11, s0, 0
	;; [unrolled: 1-line block ×3, first 2 shown]
	v_add_co_u32 v3, vcc_lo, v12, v3
	v_add_co_ci_u32_e64 v4, null, 0, v4, vcc_lo
	v_add_co_u32 v3, vcc_lo, v3, v5
	v_add_co_ci_u32_e32 v3, vcc_lo, v4, v6, vcc_lo
	v_add_co_ci_u32_e32 v4, vcc_lo, 0, v8, vcc_lo
	v_add_co_u32 v5, vcc_lo, v3, v7
	v_add_co_ci_u32_e64 v6, null, 0, v4, vcc_lo
	v_mul_lo_u32 v7, s3, v5
	v_mad_u64_u32 v[3:4], null, s2, v5, 0
	v_mul_lo_u32 v8, s2, v6
	v_sub_co_u32 v3, vcc_lo, v10, v3
	v_add3_u32 v4, v4, v8, v7
	v_add_co_u32 v8, s0, v5, 2
	v_add_co_ci_u32_e64 v10, null, 0, v6, s0
	v_sub_nc_u32_e32 v7, v11, v4
	v_sub_co_u32 v12, s0, v3, s2
	v_sub_co_ci_u32_e64 v4, null, v11, v4, vcc_lo
	v_subrev_co_ci_u32_e64 v7, null, s3, v7, vcc_lo
	v_cmp_le_u32_e32 vcc_lo, s2, v12
	v_subrev_co_ci_u32_e64 v7, null, 0, v7, s0
	v_cndmask_b32_e64 v11, 0, -1, vcc_lo
	v_cmp_le_u32_e32 vcc_lo, s3, v7
	v_cndmask_b32_e64 v12, 0, -1, vcc_lo
	v_cmp_le_u32_e32 vcc_lo, s2, v3
	;; [unrolled: 2-line block ×3, first 2 shown]
	v_cndmask_b32_e64 v13, 0, -1, vcc_lo
	v_cmp_eq_u32_e32 vcc_lo, s3, v7
	v_cndmask_b32_e32 v7, v12, v11, vcc_lo
	v_add_co_u32 v11, vcc_lo, v5, 1
	v_add_co_ci_u32_e64 v12, null, 0, v6, vcc_lo
	v_cmp_eq_u32_e32 vcc_lo, s3, v4
	v_cndmask_b32_e32 v3, v13, v3, vcc_lo
	v_cmp_ne_u32_e32 vcc_lo, 0, v7
	v_xor_b32_e32 v7, s44, v9
	v_cmp_ne_u32_e64 s0, 0, v3
	v_cndmask_b32_e32 v3, v11, v8, vcc_lo
	v_cndmask_b32_e32 v4, v12, v10, vcc_lo
	v_cndmask_b32_e64 v3, v5, v3, s0
	v_cndmask_b32_e64 v4, v6, v4, s0
	v_xor_b32_e32 v3, v3, v7
	v_xor_b32_e32 v5, v4, v7
	v_sub_co_u32 v4, vcc_lo, v3, v7
	v_sub_co_ci_u32_e64 v5, null, v5, v7, vcc_lo
.LBB1_5:                                ;   in Loop: Header=BB1_3 Depth=1
	s_andn2_saveexec_b32 s0, s1
	s_cbranch_execz .LBB1_7
; %bb.6:                                ;   in Loop: Header=BB1_3 Depth=1
	s_sub_i32 s1, 0, s26
	v_mul_lo_u32 v3, s1, v15
	v_mul_hi_u32 v3, v15, v3
	v_add_nc_u32_e32 v3, v15, v3
	v_mul_hi_u32 v3, v0, v3
	v_mul_lo_u32 v4, v3, s26
	v_add_nc_u32_e32 v5, 1, v3
	v_sub_nc_u32_e32 v4, v0, v4
	v_subrev_nc_u32_e32 v6, s26, v4
	v_cmp_le_u32_e32 vcc_lo, s26, v4
	v_cndmask_b32_e32 v4, v4, v6, vcc_lo
	v_cndmask_b32_e32 v3, v3, v5, vcc_lo
	v_cmp_le_u32_e32 vcc_lo, s26, v4
	v_add_nc_u32_e32 v5, 1, v3
	v_cndmask_b32_e32 v4, v3, v5, vcc_lo
	v_mov_b32_e32 v5, v2
.LBB1_7:                                ;   in Loop: Header=BB1_3 Depth=1
	s_or_b32 exec_lo, exec_lo, s0
	v_or_b32_e32 v3, s25, v5
                                        ; implicit-def: $vgpr6_vgpr7
	s_mov_b32 s0, exec_lo
	v_cmpx_ne_u64_e32 0, v[2:3]
	s_xor_b32 s1, exec_lo, s0
	s_cbranch_execnz .LBB1_10
; %bb.8:                                ;   in Loop: Header=BB1_3 Depth=1
	s_andn2_saveexec_b32 s0, s1
	s_cbranch_execnz .LBB1_11
.LBB1_9:                                ;   in Loop: Header=BB1_3 Depth=1
	s_or_b32 exec_lo, exec_lo, s0
	s_andn2_b32 vcc_lo, exec_lo, s33
	s_cbranch_vccz .LBB1_12
	s_branch .LBB1_2
.LBB1_10:                               ;   in Loop: Header=BB1_3 Depth=1
	s_ashr_i32 s2, s25, 31
	v_ashrrev_i32_e32 v12, 31, v5
	s_add_u32 s46, s24, s2
	s_mov_b32 s3, s2
	s_addc_u32 s47, s25, s2
	s_xor_b64 s[46:47], s[46:47], s[2:3]
	v_add_co_u32 v7, vcc_lo, v4, v12
	v_cvt_f32_u32_e32 v3, s46
	v_cvt_f32_u32_e32 v6, s47
	s_sub_u32 s45, 0, s46
	s_subb_u32 s48, 0, s47
	v_add_co_ci_u32_e64 v8, null, v5, v12, vcc_lo
	v_fmac_f32_e32 v3, 0x4f800000, v6
	v_xor_b32_e32 v13, v8, v12
	v_rcp_f32_e32 v3, v3
	v_mul_f32_e32 v3, 0x5f7ffffc, v3
	v_mul_f32_e32 v6, 0x2f800000, v3
	v_trunc_f32_e32 v6, v6
	v_fmac_f32_e32 v3, 0xcf800000, v6
	v_cvt_u32_f32_e32 v6, v6
	v_cvt_u32_f32_e32 v3, v3
	v_readfirstlane_b32 s0, v6
	v_readfirstlane_b32 s3, v3
	s_mul_i32 s49, s45, s0
	v_xor_b32_e32 v3, v7, v12
	s_mul_hi_u32 s58, s45, s3
	s_mul_i32 s57, s48, s3
	s_add_i32 s49, s58, s49
	s_mul_i32 s59, s45, s3
	s_add_i32 s49, s49, s57
	s_mul_hi_u32 s58, s3, s59
	s_mul_i32 s61, s3, s49
	s_mul_hi_u32 s60, s0, s59
	s_mul_i32 s57, s0, s59
	s_mul_hi_u32 s59, s3, s49
	s_add_u32 s58, s58, s61
	s_addc_u32 s59, 0, s59
	s_mul_hi_u32 s62, s0, s49
	s_add_u32 s57, s58, s57
	s_mul_i32 s49, s0, s49
	s_addc_u32 s57, s59, s60
	s_addc_u32 s58, s62, 0
	s_add_u32 s49, s57, s49
	s_addc_u32 s57, 0, s58
	s_add_u32 s3, s3, s49
	s_cselect_b32 s49, -1, 0
	s_mul_hi_u32 s58, s45, s3
	s_cmp_lg_u32 s49, 0
	s_mul_i32 s49, s45, s3
	s_addc_u32 s0, s0, s57
	s_mul_i32 s48, s48, s3
	s_mul_i32 s45, s45, s0
	s_mul_hi_u32 s57, s3, s49
	s_add_i32 s45, s58, s45
	s_mul_hi_u32 s58, s0, s49
	s_add_i32 s45, s45, s48
	s_mul_i32 s48, s0, s49
	s_mul_i32 s60, s3, s45
	s_mul_hi_u32 s59, s3, s45
	s_add_u32 s57, s57, s60
	s_addc_u32 s59, 0, s59
	s_mul_hi_u32 s49, s0, s45
	s_add_u32 s48, s57, s48
	s_mul_i32 s45, s0, s45
	s_addc_u32 s48, s59, s58
	s_addc_u32 s49, s49, 0
	s_add_u32 s45, s48, s45
	s_addc_u32 s48, 0, s49
	s_add_u32 s3, s3, s45
	s_cselect_b32 s45, -1, 0
	v_mul_hi_u32 v14, v3, s3
	s_cmp_lg_u32 s45, 0
	v_mad_u64_u32 v[8:9], null, v13, s3, 0
	s_addc_u32 s0, s0, s48
	v_mad_u64_u32 v[6:7], null, v3, s0, 0
	v_mad_u64_u32 v[10:11], null, v13, s0, 0
	v_add_co_u32 v6, vcc_lo, v14, v6
	v_add_co_ci_u32_e64 v7, null, 0, v7, vcc_lo
	v_add_co_u32 v6, vcc_lo, v6, v8
	v_add_co_ci_u32_e32 v6, vcc_lo, v7, v9, vcc_lo
	v_add_co_ci_u32_e32 v7, vcc_lo, 0, v11, vcc_lo
	v_add_co_u32 v8, vcc_lo, v6, v10
	v_add_co_ci_u32_e64 v9, null, 0, v7, vcc_lo
	v_mul_lo_u32 v10, s47, v8
	v_mad_u64_u32 v[6:7], null, s46, v8, 0
	v_mul_lo_u32 v11, s46, v9
	v_sub_co_u32 v3, vcc_lo, v3, v6
	v_add3_u32 v7, v7, v11, v10
	v_sub_nc_u32_e32 v10, v13, v7
	v_sub_co_ci_u32_e64 v7, null, v13, v7, vcc_lo
	v_subrev_co_ci_u32_e64 v6, null, s47, v10, vcc_lo
	v_add_co_u32 v10, s0, v8, 2
	v_add_co_ci_u32_e64 v11, null, 0, v9, s0
	v_sub_co_u32 v14, s0, v3, s46
	v_subrev_co_ci_u32_e64 v6, null, 0, v6, s0
	v_cmp_le_u32_e32 vcc_lo, s46, v14
	v_cndmask_b32_e64 v13, 0, -1, vcc_lo
	v_cmp_le_u32_e32 vcc_lo, s47, v6
	v_cndmask_b32_e64 v14, 0, -1, vcc_lo
	;; [unrolled: 2-line block ×4, first 2 shown]
	v_cmp_eq_u32_e32 vcc_lo, s47, v6
	v_cndmask_b32_e32 v6, v14, v13, vcc_lo
	v_add_co_u32 v13, vcc_lo, v8, 1
	v_add_co_ci_u32_e64 v14, null, 0, v9, vcc_lo
	v_cmp_eq_u32_e32 vcc_lo, s47, v7
	v_xor_b32_e32 v7, s2, v12
	v_cndmask_b32_e32 v3, v16, v3, vcc_lo
	v_cmp_ne_u32_e32 vcc_lo, 0, v6
	v_cmp_ne_u32_e64 s0, 0, v3
	v_cndmask_b32_e32 v3, v13, v10, vcc_lo
	v_cndmask_b32_e32 v6, v14, v11, vcc_lo
	v_cndmask_b32_e64 v3, v8, v3, s0
	v_cndmask_b32_e64 v6, v9, v6, s0
	v_xor_b32_e32 v3, v3, v7
	v_xor_b32_e32 v8, v6, v7
	v_sub_co_u32 v6, vcc_lo, v3, v7
	v_sub_co_ci_u32_e64 v7, null, v8, v7, vcc_lo
	s_andn2_saveexec_b32 s0, s1
	s_cbranch_execz .LBB1_9
.LBB1_11:                               ;   in Loop: Header=BB1_3 Depth=1
	v_cvt_f32_u32_e32 v3, s24
	s_sub_i32 s1, 0, s24
	v_rcp_iflag_f32_e32 v3, v3
	v_mul_f32_e32 v3, 0x4f7ffffe, v3
	v_cvt_u32_f32_e32 v3, v3
	v_mul_lo_u32 v6, s1, v3
	v_mul_hi_u32 v6, v3, v6
	v_add_nc_u32_e32 v3, v3, v6
	v_mul_hi_u32 v3, v4, v3
	v_mul_lo_u32 v6, v3, s24
	v_add_nc_u32_e32 v7, 1, v3
	v_sub_nc_u32_e32 v6, v4, v6
	v_subrev_nc_u32_e32 v8, s24, v6
	v_cmp_le_u32_e32 vcc_lo, s24, v6
	v_cndmask_b32_e32 v6, v6, v8, vcc_lo
	v_cndmask_b32_e32 v3, v3, v7, vcc_lo
	v_cmp_le_u32_e32 vcc_lo, s24, v6
	v_add_nc_u32_e32 v7, 1, v3
	v_cndmask_b32_e32 v6, v3, v7, vcc_lo
	v_mov_b32_e32 v7, v2
	s_or_b32 exec_lo, exec_lo, s0
	s_andn2_b32 vcc_lo, exec_lo, s33
	s_cbranch_vccnz .LBB1_2
.LBB1_12:                               ;   in Loop: Header=BB1_3 Depth=1
	v_mul_lo_u32 v3, v7, s24
	v_mul_lo_u32 v12, v6, s25
	v_mad_u64_u32 v[8:9], null, v6, s24, 0
	v_mul_lo_u32 v13, v5, s26
	v_mul_lo_u32 v14, v4, s27
	v_mad_u64_u32 v[10:11], null, v4, s26, 0
	v_mul_lo_u32 v16, s53, v7
	v_mul_lo_u32 v7, v7, s12
	v_add3_u32 v9, v9, v12, v3
	v_sub_co_u32 v3, vcc_lo, v4, v8
	s_mov_b64 s[46:47], 0
	v_sub_co_ci_u32_e64 v4, null, v5, v9, vcc_lo
	v_add3_u32 v5, v11, v14, v13
	v_mul_lo_u32 v14, v3, s37
	v_mad_u64_u32 v[8:9], null, v3, s36, 0
	v_mul_lo_u32 v17, v4, s36
	v_sub_co_u32 v10, vcc_lo, v0, v10
	v_sub_co_ci_u32_e64 v11, null, v1, v5, vcc_lo
	v_mul_lo_u32 v5, s54, v6
	v_mad_u64_u32 v[12:13], null, s53, v6, v[3:4]
	v_add3_u32 v4, v9, v14, v17
	v_sub_co_u32 v3, vcc_lo, v8, s20
	v_mul_lo_u32 v23, s6, v11
	v_mad_u64_u32 v[18:19], null, s6, v10, 0
	v_add3_u32 v5, v5, v13, v16
	v_subrev_co_ci_u32_e64 v4, null, s21, v4, vcc_lo
	v_mul_lo_u32 v22, v12, s27
	v_mad_u64_u32 v[16:17], null, v12, s26, 0
	v_mul_lo_u32 v5, v5, s26
	v_mad_u64_u32 v[13:14], null, v6, s12, v[3:4]
	v_mul_lo_u32 v12, s7, v10
	v_mul_lo_u32 v6, v6, s13
	;; [unrolled: 1-line block ×4, first 2 shown]
	v_mad_u64_u32 v[8:9], null, v10, s38, 0
	v_add3_u32 v17, v17, v22, v5
	v_add3_u32 v19, v19, v23, v12
	;; [unrolled: 1-line block ×3, first 2 shown]
	v_mul_lo_u32 v12, s5, v13
	v_lshlrev_b64 v[16:17], 2, v[16:17]
	v_add3_u32 v9, v9, v21, v20
	v_mad_u64_u32 v[18:19], null, s4, v13, v[18:19]
	v_mul_lo_u32 v13, s4, v5
	v_sub_co_u32 v5, vcc_lo, v8, s22
	v_lshlrev_b64 v[7:8], 2, v[10:11]
	v_subrev_co_ci_u32_e64 v6, null, s23, v9, vcc_lo
	v_add_co_u32 v9, vcc_lo, s28, v16
	v_add_co_ci_u32_e64 v10, null, s29, v17, vcc_lo
	v_add3_u32 v11, v12, v19, v13
	v_add_co_u32 v7, vcc_lo, v9, v7
	v_add_co_ci_u32_e64 v8, null, v10, v8, vcc_lo
	v_add_co_u32 v9, vcc_lo, s55, v18
	v_add_co_ci_u32_e64 v10, null, s56, v11, vcc_lo
	s_branch .LBB1_14
.LBB1_13:                               ;   in Loop: Header=BB1_14 Depth=2
	s_inst_prefetch 0x2
	v_add_co_u32 v9, vcc_lo, v9, s10
	s_add_u32 s46, s46, 1
	v_add_co_ci_u32_e64 v10, null, s11, v10, vcc_lo
	s_addc_u32 s47, s47, 0
	s_cmp_eq_u64 s[46:47], s[16:17]
	s_cbranch_scc1 .LBB1_2
.LBB1_14:                               ;   Parent Loop BB1_3 Depth=1
                                        ; =>  This Loop Header: Depth=2
                                        ;       Child Loop BB1_17 Depth 3
	s_andn2_b32 vcc_lo, exec_lo, s50
	s_cbranch_vccnz .LBB1_13
; %bb.15:                               ;   in Loop: Header=BB1_14 Depth=2
	v_mad_u64_u32 v[11:12], null, s46, s40, v[3:4]
	s_mul_i32 s0, s47, s40
	s_mul_i32 s1, s46, s41
	v_mov_b32_e32 v14, v10
	v_mov_b32_e32 v13, v9
	s_mov_b64 s[48:49], s[18:19]
	v_add3_u32 v12, s1, s0, v12
	v_cmp_lt_i64_e32 vcc_lo, -1, v[11:12]
	v_cmp_gt_i64_e64 s0, s[12:13], v[11:12]
	v_mov_b32_e32 v12, v6
	v_mov_b32_e32 v11, v5
	s_inst_prefetch 0x1
	s_branch .LBB1_17
	.p2align	6
.LBB1_16:                               ;   in Loop: Header=BB1_17 Depth=3
	s_or_b32 exec_lo, exec_lo, s1
	v_add_co_u32 v13, s1, v13, s30
	v_add_co_ci_u32_e64 v14, null, s31, v14, s1
	v_add_co_u32 v11, s1, v11, s42
	s_waitcnt vmcnt(0)
	global_store_dword v[7:8], v16, off
	v_add_co_ci_u32_e64 v12, null, s43, v12, s1
	v_add_co_u32 v7, s1, v7, s34
	s_add_u32 s48, s48, -1
	v_add_co_ci_u32_e64 v8, null, s35, v8, s1
	s_addc_u32 s49, s49, -1
	s_cmp_eq_u64 s[48:49], 0
	s_cbranch_scc1 .LBB1_13
.LBB1_17:                               ;   Parent Loop BB1_3 Depth=1
                                        ;     Parent Loop BB1_14 Depth=2
                                        ; =>    This Inner Loop Header: Depth=3
	v_cmp_lt_i64_e64 s1, -1, v[11:12]
	v_cmp_gt_i64_e64 s2, s[14:15], v[11:12]
	v_mov_b32_e32 v16, 0
	s_and_b32 s1, vcc_lo, s1
	s_and_b32 s1, s0, s1
	s_and_b32 s2, s1, s2
	s_and_saveexec_b32 s1, s2
	s_cbranch_execz .LBB1_16
; %bb.18:                               ;   in Loop: Header=BB1_17 Depth=3
	global_load_dword v16, v[13:14], off
	s_branch .LBB1_16
.LBB1_19:
	s_endpgm
	.section	.rodata,"a",@progbits
	.p2align	6, 0x0
	.amdhsa_kernel _ZN2at6native13im2col_kernelIfEEvlPKT_llllllllllllPS2_
		.amdhsa_group_segment_fixed_size 0
		.amdhsa_private_segment_fixed_size 0
		.amdhsa_kernarg_size 376
		.amdhsa_user_sgpr_count 6
		.amdhsa_user_sgpr_private_segment_buffer 1
		.amdhsa_user_sgpr_dispatch_ptr 0
		.amdhsa_user_sgpr_queue_ptr 0
		.amdhsa_user_sgpr_kernarg_segment_ptr 1
		.amdhsa_user_sgpr_dispatch_id 0
		.amdhsa_user_sgpr_flat_scratch_init 0
		.amdhsa_user_sgpr_private_segment_size 0
		.amdhsa_wavefront_size32 1
		.amdhsa_uses_dynamic_stack 0
		.amdhsa_system_sgpr_private_segment_wavefront_offset 0
		.amdhsa_system_sgpr_workgroup_id_x 1
		.amdhsa_system_sgpr_workgroup_id_y 0
		.amdhsa_system_sgpr_workgroup_id_z 0
		.amdhsa_system_sgpr_workgroup_info 0
		.amdhsa_system_vgpr_workitem_id 0
		.amdhsa_next_free_vgpr 24
		.amdhsa_next_free_sgpr 63
		.amdhsa_reserve_vcc 1
		.amdhsa_reserve_flat_scratch 0
		.amdhsa_float_round_mode_32 0
		.amdhsa_float_round_mode_16_64 0
		.amdhsa_float_denorm_mode_32 3
		.amdhsa_float_denorm_mode_16_64 3
		.amdhsa_dx10_clamp 1
		.amdhsa_ieee_mode 1
		.amdhsa_fp16_overflow 0
		.amdhsa_workgroup_processor_mode 1
		.amdhsa_memory_ordered 1
		.amdhsa_forward_progress 1
		.amdhsa_shared_vgpr_count 0
		.amdhsa_exception_fp_ieee_invalid_op 0
		.amdhsa_exception_fp_denorm_src 0
		.amdhsa_exception_fp_ieee_div_zero 0
		.amdhsa_exception_fp_ieee_overflow 0
		.amdhsa_exception_fp_ieee_underflow 0
		.amdhsa_exception_fp_ieee_inexact 0
		.amdhsa_exception_int_div_zero 0
	.end_amdhsa_kernel
	.section	.text._ZN2at6native13im2col_kernelIfEEvlPKT_llllllllllllPS2_,"axG",@progbits,_ZN2at6native13im2col_kernelIfEEvlPKT_llllllllllllPS2_,comdat
.Lfunc_end1:
	.size	_ZN2at6native13im2col_kernelIfEEvlPKT_llllllllllllPS2_, .Lfunc_end1-_ZN2at6native13im2col_kernelIfEEvlPKT_llllllllllllPS2_
                                        ; -- End function
	.set _ZN2at6native13im2col_kernelIfEEvlPKT_llllllllllllPS2_.num_vgpr, 24
	.set _ZN2at6native13im2col_kernelIfEEvlPKT_llllllllllllPS2_.num_agpr, 0
	.set _ZN2at6native13im2col_kernelIfEEvlPKT_llllllllllllPS2_.numbered_sgpr, 63
	.set _ZN2at6native13im2col_kernelIfEEvlPKT_llllllllllllPS2_.num_named_barrier, 0
	.set _ZN2at6native13im2col_kernelIfEEvlPKT_llllllllllllPS2_.private_seg_size, 0
	.set _ZN2at6native13im2col_kernelIfEEvlPKT_llllllllllllPS2_.uses_vcc, 1
	.set _ZN2at6native13im2col_kernelIfEEvlPKT_llllllllllllPS2_.uses_flat_scratch, 0
	.set _ZN2at6native13im2col_kernelIfEEvlPKT_llllllllllllPS2_.has_dyn_sized_stack, 0
	.set _ZN2at6native13im2col_kernelIfEEvlPKT_llllllllllllPS2_.has_recursion, 0
	.set _ZN2at6native13im2col_kernelIfEEvlPKT_llllllllllllPS2_.has_indirect_call, 0
	.section	.AMDGPU.csdata,"",@progbits
; Kernel info:
; codeLenInByte = 2568
; TotalNumSgprs: 65
; NumVgprs: 24
; ScratchSize: 0
; MemoryBound: 0
; FloatMode: 240
; IeeeMode: 1
; LDSByteSize: 0 bytes/workgroup (compile time only)
; SGPRBlocks: 0
; VGPRBlocks: 2
; NumSGPRsForWavesPerEU: 65
; NumVGPRsForWavesPerEU: 24
; Occupancy: 16
; WaveLimiterHint : 0
; COMPUTE_PGM_RSRC2:SCRATCH_EN: 0
; COMPUTE_PGM_RSRC2:USER_SGPR: 6
; COMPUTE_PGM_RSRC2:TRAP_HANDLER: 0
; COMPUTE_PGM_RSRC2:TGID_X_EN: 1
; COMPUTE_PGM_RSRC2:TGID_Y_EN: 0
; COMPUTE_PGM_RSRC2:TGID_Z_EN: 0
; COMPUTE_PGM_RSRC2:TIDIG_COMP_CNT: 0
	.section	.text._ZN2at6native13im2col_kernelIN3c107complexIdEEEEvlPKT_llllllllllllPS5_,"axG",@progbits,_ZN2at6native13im2col_kernelIN3c107complexIdEEEEvlPKT_llllllllllllPS5_,comdat
	.protected	_ZN2at6native13im2col_kernelIN3c107complexIdEEEEvlPKT_llllllllllllPS5_ ; -- Begin function _ZN2at6native13im2col_kernelIN3c107complexIdEEEEvlPKT_llllllllllllPS5_
	.globl	_ZN2at6native13im2col_kernelIN3c107complexIdEEEEvlPKT_llllllllllllPS5_
	.p2align	8
	.type	_ZN2at6native13im2col_kernelIN3c107complexIdEEEEvlPKT_llllllllllllPS5_,@function
_ZN2at6native13im2col_kernelIN3c107complexIdEEEEvlPKT_llllllllllllPS5_: ; @_ZN2at6native13im2col_kernelIN3c107complexIdEEEEvlPKT_llllllllllllPS5_
; %bb.0:
	s_clause 0x1
	s_load_dword s2, s[4:5], 0x84
	s_load_dwordx16 s[8:23], s[4:5], 0x0
	v_mov_b32_e32 v4, 0
	s_add_u32 s0, s4, 0x78
	s_addc_u32 s1, s5, 0
	s_mov_b32 s3, exec_lo
	v_mov_b32_e32 v1, v4
	s_waitcnt lgkmcnt(0)
	s_and_b32 s2, s2, 0xffff
	v_mad_u64_u32 v[6:7], null, s2, s6, v[0:1]
	v_cmpx_gt_i64_e64 s[8:9], v[6:7]
	s_cbranch_execz .LBB2_19
; %bb.1:
	s_load_dwordx8 s[24:31], s[4:5], 0x60
	s_load_dword s3, s[0:1], 0x0
	s_load_dwordx8 s[36:43], s[4:5], 0x40
	s_lshl_b64 s[0:1], s[22:23], 4
	v_cmp_gt_i64_e64 s33, s[16:17], 0
	v_cmp_gt_i64_e64 s50, s[18:19], 0
	s_mov_b32 s51, 0
	s_waitcnt lgkmcnt(0)
	v_cvt_f32_u32_e32 v0, s26
	s_mul_i32 s4, s18, s25
	s_mul_hi_u32 s5, s18, s24
	s_mul_i32 s6, s19, s24
	s_mul_i32 s7, s18, s24
	v_rcp_iflag_f32_e32 v0, v0
	s_mul_i32 s52, s3, s2
	s_mul_i32 s3, s26, s25
	s_mul_hi_u32 s30, s26, s24
	s_add_i32 s4, s5, s4
	s_mul_i32 s31, s27, s24
	s_mul_i32 s5, s7, s17
	s_mul_hi_u32 s34, s7, s16
	s_add_i32 s3, s30, s3
	s_add_i32 s4, s4, s6
	s_mul_i32 s2, s26, s24
	s_mul_i32 s53, s7, s16
	s_add_i32 s6, s34, s5
	s_add_i32 s3, s3, s31
	s_mul_i32 s7, s4, s16
	s_lshl_b64 s[4:5], s[2:3], 4
	s_add_i32 s54, s6, s7
	s_sub_u32 s0, 8, s0
	s_subb_u32 s1, 0, s1
	v_mul_f32_e32 v0, 0x4f7ffffe, v0
	s_add_u32 s55, s10, s0
	s_addc_u32 s56, s11, s1
	s_mul_i32 s0, s40, s15
	s_mul_hi_u32 s1, s40, s14
	v_cvt_u32_f32_e32 v20, v0
	s_add_i32 s0, s1, s0
	s_mul_i32 s1, s41, s14
	s_lshl_b64 s[6:7], s[14:15], 4
	s_add_i32 s1, s0, s1
	s_mul_i32 s0, s40, s14
	s_lshl_b64 s[10:11], s[38:39], 4
	s_lshl_b64 s[30:31], s[0:1], 4
	;; [unrolled: 1-line block ×3, first 2 shown]
	s_ashr_i32 s44, s27, 31
	s_branch .LBB2_3
.LBB2_2:                                ;   in Loop: Header=BB2_3 Depth=1
	v_add_co_u32 v6, vcc_lo, v6, s52
	v_add_co_ci_u32_e64 v7, null, 0, v7, vcc_lo
	v_cmp_le_i64_e32 vcc_lo, s[8:9], v[6:7]
	s_or_b32 s51, vcc_lo, s51
	s_andn2_b32 exec_lo, exec_lo, s51
	s_cbranch_execz .LBB2_19
.LBB2_3:                                ; =>This Loop Header: Depth=1
                                        ;     Child Loop BB2_14 Depth 2
                                        ;       Child Loop BB2_17 Depth 3
	v_or_b32_e32 v5, s27, v7
                                        ; implicit-def: $vgpr0_vgpr1
	s_mov_b32 s0, exec_lo
	v_cmpx_ne_u64_e32 0, v[4:5]
	s_xor_b32 s1, exec_lo, s0
	s_cbranch_execz .LBB2_5
; %bb.4:                                ;   in Loop: Header=BB2_3 Depth=1
	s_add_u32 s2, s26, s44
	s_mov_b32 s45, s44
	s_addc_u32 s3, s27, s44
	v_ashrrev_i32_e32 v5, 31, v7
	s_xor_b64 s[2:3], s[2:3], s[44:45]
	v_cvt_f32_u32_e32 v0, s2
	v_cvt_f32_u32_e32 v1, s3
	s_sub_u32 s0, 0, s2
	s_subb_u32 s47, 0, s3
	v_add_co_u32 v2, vcc_lo, v6, v5
	v_fmac_f32_e32 v0, 0x4f800000, v1
	v_xor_b32_e32 v10, v2, v5
	v_rcp_f32_e32 v0, v0
	v_mul_f32_e32 v0, 0x5f7ffffc, v0
	v_mul_f32_e32 v1, 0x2f800000, v0
	v_trunc_f32_e32 v1, v1
	v_fmac_f32_e32 v0, 0xcf800000, v1
	v_cvt_u32_f32_e32 v1, v1
	v_cvt_u32_f32_e32 v0, v0
	v_readfirstlane_b32 s45, v1
	v_readfirstlane_b32 s46, v0
	s_mul_i32 s48, s0, s45
	v_add_co_ci_u32_e64 v0, null, v7, v5, vcc_lo
	s_mul_hi_u32 s57, s0, s46
	s_mul_i32 s49, s47, s46
	s_add_i32 s48, s57, s48
	s_mul_i32 s58, s0, s46
	s_add_i32 s48, s48, s49
	s_mul_hi_u32 s57, s46, s58
	s_mul_i32 s60, s46, s48
	s_mul_hi_u32 s59, s45, s58
	s_mul_i32 s49, s45, s58
	s_mul_hi_u32 s58, s46, s48
	s_add_u32 s57, s57, s60
	s_addc_u32 s58, 0, s58
	s_mul_hi_u32 s61, s45, s48
	s_add_u32 s49, s57, s49
	s_mul_i32 s48, s45, s48
	s_addc_u32 s49, s58, s59
	s_addc_u32 s57, s61, 0
	s_add_u32 s48, s49, s48
	s_addc_u32 s49, 0, s57
	s_add_u32 s46, s46, s48
	s_cselect_b32 s48, -1, 0
	s_mul_hi_u32 s57, s0, s46
	s_cmp_lg_u32 s48, 0
	s_mul_i32 s48, s0, s46
	s_addc_u32 s45, s45, s49
	s_mul_i32 s47, s47, s46
	s_mul_i32 s0, s0, s45
	s_mul_hi_u32 s49, s46, s48
	s_add_i32 s0, s57, s0
	s_mul_hi_u32 s57, s45, s48
	s_add_i32 s0, s0, s47
	s_mul_i32 s47, s45, s48
	s_mul_i32 s59, s46, s0
	s_mul_hi_u32 s58, s46, s0
	s_add_u32 s49, s49, s59
	s_addc_u32 s58, 0, s58
	s_mul_hi_u32 s48, s45, s0
	s_add_u32 s47, s49, s47
	s_mul_i32 s0, s45, s0
	s_addc_u32 s47, s58, s57
	s_addc_u32 s48, s48, 0
	s_add_u32 s0, s47, s0
	s_addc_u32 s47, 0, s48
	s_add_u32 s0, s46, s0
	s_cselect_b32 s46, -1, 0
	v_xor_b32_e32 v11, v0, v5
	s_cmp_lg_u32 s46, 0
	v_mul_hi_u32 v12, v10, s0
	s_addc_u32 s45, s45, s47
	v_xor_b32_e32 v5, s44, v5
	v_mad_u64_u32 v[0:1], null, v10, s45, 0
	v_mad_u64_u32 v[2:3], null, v11, s0, 0
	;; [unrolled: 1-line block ×3, first 2 shown]
	v_add_co_u32 v0, vcc_lo, v12, v0
	v_add_co_ci_u32_e64 v1, null, 0, v1, vcc_lo
	v_add_co_u32 v0, vcc_lo, v0, v2
	v_add_co_ci_u32_e32 v0, vcc_lo, v1, v3, vcc_lo
	v_add_co_ci_u32_e32 v1, vcc_lo, 0, v9, vcc_lo
	v_add_co_u32 v2, vcc_lo, v0, v8
	v_add_co_ci_u32_e64 v3, null, 0, v1, vcc_lo
	v_mul_lo_u32 v8, s3, v2
	v_mad_u64_u32 v[0:1], null, s2, v2, 0
	v_mul_lo_u32 v9, s2, v3
	v_sub_co_u32 v0, vcc_lo, v10, v0
	v_add3_u32 v1, v1, v9, v8
	v_add_co_u32 v9, s0, v2, 2
	v_add_co_ci_u32_e64 v10, null, 0, v3, s0
	v_sub_nc_u32_e32 v8, v11, v1
	v_sub_co_u32 v12, s0, v0, s2
	v_sub_co_ci_u32_e64 v1, null, v11, v1, vcc_lo
	v_subrev_co_ci_u32_e64 v8, null, s3, v8, vcc_lo
	v_cmp_le_u32_e32 vcc_lo, s2, v12
	v_subrev_co_ci_u32_e64 v8, null, 0, v8, s0
	v_cndmask_b32_e64 v11, 0, -1, vcc_lo
	v_cmp_le_u32_e32 vcc_lo, s3, v8
	v_cndmask_b32_e64 v12, 0, -1, vcc_lo
	v_cmp_le_u32_e32 vcc_lo, s2, v0
	;; [unrolled: 2-line block ×3, first 2 shown]
	v_cndmask_b32_e64 v13, 0, -1, vcc_lo
	v_cmp_eq_u32_e32 vcc_lo, s3, v8
	v_cndmask_b32_e32 v8, v12, v11, vcc_lo
	v_add_co_u32 v11, vcc_lo, v2, 1
	v_add_co_ci_u32_e64 v12, null, 0, v3, vcc_lo
	v_cmp_eq_u32_e32 vcc_lo, s3, v1
	v_cndmask_b32_e32 v0, v13, v0, vcc_lo
	v_cmp_ne_u32_e32 vcc_lo, 0, v8
	v_cmp_ne_u32_e64 s0, 0, v0
	v_cndmask_b32_e32 v0, v11, v9, vcc_lo
	v_cndmask_b32_e32 v1, v12, v10, vcc_lo
	v_cndmask_b32_e64 v0, v2, v0, s0
	v_cndmask_b32_e64 v1, v3, v1, s0
	v_xor_b32_e32 v0, v0, v5
	v_xor_b32_e32 v1, v1, v5
	v_sub_co_u32 v0, vcc_lo, v0, v5
	v_sub_co_ci_u32_e64 v1, null, v1, v5, vcc_lo
.LBB2_5:                                ;   in Loop: Header=BB2_3 Depth=1
	s_andn2_saveexec_b32 s0, s1
	s_cbranch_execz .LBB2_7
; %bb.6:                                ;   in Loop: Header=BB2_3 Depth=1
	s_sub_i32 s1, 0, s26
	v_mul_lo_u32 v0, s1, v20
	v_mul_hi_u32 v0, v20, v0
	v_add_nc_u32_e32 v0, v20, v0
	v_mul_hi_u32 v0, v6, v0
	v_mul_lo_u32 v1, v0, s26
	v_add_nc_u32_e32 v2, 1, v0
	v_sub_nc_u32_e32 v1, v6, v1
	v_subrev_nc_u32_e32 v3, s26, v1
	v_cmp_le_u32_e32 vcc_lo, s26, v1
	v_cndmask_b32_e32 v1, v1, v3, vcc_lo
	v_cndmask_b32_e32 v0, v0, v2, vcc_lo
	v_cmp_le_u32_e32 vcc_lo, s26, v1
	v_add_nc_u32_e32 v2, 1, v0
	v_mov_b32_e32 v1, v4
	v_cndmask_b32_e32 v0, v0, v2, vcc_lo
.LBB2_7:                                ;   in Loop: Header=BB2_3 Depth=1
	s_or_b32 exec_lo, exec_lo, s0
	v_or_b32_e32 v5, s25, v1
                                        ; implicit-def: $vgpr2_vgpr3
	s_mov_b32 s0, exec_lo
	v_cmpx_ne_u64_e32 0, v[4:5]
	s_xor_b32 s1, exec_lo, s0
	s_cbranch_execnz .LBB2_10
; %bb.8:                                ;   in Loop: Header=BB2_3 Depth=1
	s_andn2_saveexec_b32 s0, s1
	s_cbranch_execnz .LBB2_11
.LBB2_9:                                ;   in Loop: Header=BB2_3 Depth=1
	s_or_b32 exec_lo, exec_lo, s0
	s_andn2_b32 vcc_lo, exec_lo, s33
	s_cbranch_vccz .LBB2_12
	s_branch .LBB2_2
.LBB2_10:                               ;   in Loop: Header=BB2_3 Depth=1
	s_ashr_i32 s2, s25, 31
	v_ashrrev_i32_e32 v5, 31, v1
	s_add_u32 s46, s24, s2
	s_mov_b32 s3, s2
	s_addc_u32 s47, s25, s2
	s_xor_b64 s[46:47], s[46:47], s[2:3]
	v_add_co_u32 v8, vcc_lo, v0, v5
	v_cvt_f32_u32_e32 v2, s46
	v_cvt_f32_u32_e32 v3, s47
	s_sub_u32 s45, 0, s46
	s_subb_u32 s48, 0, s47
	v_add_co_ci_u32_e64 v9, null, v1, v5, vcc_lo
	v_fmac_f32_e32 v2, 0x4f800000, v3
	v_xor_b32_e32 v12, v8, v5
	v_xor_b32_e32 v13, v9, v5
	;; [unrolled: 1-line block ×3, first 2 shown]
	v_rcp_f32_e32 v2, v2
	v_mul_f32_e32 v2, 0x5f7ffffc, v2
	v_mul_f32_e32 v3, 0x2f800000, v2
	v_trunc_f32_e32 v3, v3
	v_fmac_f32_e32 v2, 0xcf800000, v3
	v_cvt_u32_f32_e32 v3, v3
	v_cvt_u32_f32_e32 v2, v2
	v_readfirstlane_b32 s0, v3
	v_readfirstlane_b32 s3, v2
	s_mul_i32 s49, s45, s0
	s_mul_hi_u32 s58, s45, s3
	s_mul_i32 s57, s48, s3
	s_add_i32 s49, s58, s49
	s_mul_i32 s59, s45, s3
	s_add_i32 s49, s49, s57
	s_mul_hi_u32 s58, s3, s59
	s_mul_i32 s61, s3, s49
	s_mul_hi_u32 s60, s0, s59
	s_mul_i32 s57, s0, s59
	s_mul_hi_u32 s59, s3, s49
	s_add_u32 s58, s58, s61
	s_addc_u32 s59, 0, s59
	s_mul_hi_u32 s62, s0, s49
	s_add_u32 s57, s58, s57
	s_mul_i32 s49, s0, s49
	s_addc_u32 s57, s59, s60
	s_addc_u32 s58, s62, 0
	s_add_u32 s49, s57, s49
	s_addc_u32 s57, 0, s58
	s_add_u32 s3, s3, s49
	s_cselect_b32 s49, -1, 0
	s_mul_hi_u32 s58, s45, s3
	s_cmp_lg_u32 s49, 0
	s_mul_i32 s49, s45, s3
	s_addc_u32 s0, s0, s57
	s_mul_i32 s48, s48, s3
	s_mul_i32 s45, s45, s0
	s_mul_hi_u32 s57, s3, s49
	s_add_i32 s45, s58, s45
	s_mul_hi_u32 s58, s0, s49
	s_add_i32 s45, s45, s48
	s_mul_i32 s48, s0, s49
	s_mul_i32 s60, s3, s45
	s_mul_hi_u32 s59, s3, s45
	s_add_u32 s57, s57, s60
	s_addc_u32 s59, 0, s59
	s_mul_hi_u32 s49, s0, s45
	s_add_u32 s48, s57, s48
	s_mul_i32 s45, s0, s45
	s_addc_u32 s48, s59, s58
	s_addc_u32 s49, s49, 0
	s_add_u32 s45, s48, s45
	s_addc_u32 s48, 0, s49
	s_add_u32 s3, s3, s45
	s_cselect_b32 s45, -1, 0
	v_mul_hi_u32 v14, v12, s3
	s_cmp_lg_u32 s45, 0
	v_mad_u64_u32 v[8:9], null, v13, s3, 0
	s_addc_u32 s0, s0, s48
	v_mad_u64_u32 v[2:3], null, v12, s0, 0
	v_mad_u64_u32 v[10:11], null, v13, s0, 0
	v_add_co_u32 v2, vcc_lo, v14, v2
	v_add_co_ci_u32_e64 v3, null, 0, v3, vcc_lo
	v_add_co_u32 v2, vcc_lo, v2, v8
	v_add_co_ci_u32_e32 v2, vcc_lo, v3, v9, vcc_lo
	v_add_co_ci_u32_e32 v3, vcc_lo, 0, v11, vcc_lo
	v_add_co_u32 v8, vcc_lo, v2, v10
	v_add_co_ci_u32_e64 v9, null, 0, v3, vcc_lo
	v_mul_lo_u32 v10, s47, v8
	v_mad_u64_u32 v[2:3], null, s46, v8, 0
	v_mul_lo_u32 v11, s46, v9
	v_sub_co_u32 v2, vcc_lo, v12, v2
	v_add3_u32 v3, v3, v11, v10
	v_add_co_u32 v11, s0, v8, 2
	v_add_co_ci_u32_e64 v12, null, 0, v9, s0
	v_sub_nc_u32_e32 v10, v13, v3
	v_sub_co_u32 v14, s0, v2, s46
	v_sub_co_ci_u32_e64 v3, null, v13, v3, vcc_lo
	v_subrev_co_ci_u32_e64 v10, null, s47, v10, vcc_lo
	v_cmp_le_u32_e32 vcc_lo, s46, v14
	v_subrev_co_ci_u32_e64 v10, null, 0, v10, s0
	v_cndmask_b32_e64 v13, 0, -1, vcc_lo
	v_cmp_le_u32_e32 vcc_lo, s47, v10
	v_cndmask_b32_e64 v14, 0, -1, vcc_lo
	v_cmp_le_u32_e32 vcc_lo, s46, v2
	;; [unrolled: 2-line block ×3, first 2 shown]
	v_cndmask_b32_e64 v15, 0, -1, vcc_lo
	v_cmp_eq_u32_e32 vcc_lo, s47, v10
	v_cndmask_b32_e32 v10, v14, v13, vcc_lo
	v_add_co_u32 v13, vcc_lo, v8, 1
	v_add_co_ci_u32_e64 v14, null, 0, v9, vcc_lo
	v_cmp_eq_u32_e32 vcc_lo, s47, v3
	v_cndmask_b32_e32 v2, v15, v2, vcc_lo
	v_cmp_ne_u32_e32 vcc_lo, 0, v10
	v_cmp_ne_u32_e64 s0, 0, v2
	v_cndmask_b32_e32 v2, v13, v11, vcc_lo
	v_cndmask_b32_e32 v3, v14, v12, vcc_lo
	v_cndmask_b32_e64 v2, v8, v2, s0
	v_cndmask_b32_e64 v3, v9, v3, s0
	v_xor_b32_e32 v2, v2, v5
	v_xor_b32_e32 v3, v3, v5
	v_sub_co_u32 v2, vcc_lo, v2, v5
	v_sub_co_ci_u32_e64 v3, null, v3, v5, vcc_lo
	s_andn2_saveexec_b32 s0, s1
	s_cbranch_execz .LBB2_9
.LBB2_11:                               ;   in Loop: Header=BB2_3 Depth=1
	v_cvt_f32_u32_e32 v2, s24
	s_sub_i32 s1, 0, s24
	v_rcp_iflag_f32_e32 v2, v2
	v_mul_f32_e32 v2, 0x4f7ffffe, v2
	v_cvt_u32_f32_e32 v2, v2
	v_mul_lo_u32 v3, s1, v2
	v_mul_hi_u32 v3, v2, v3
	v_add_nc_u32_e32 v2, v2, v3
	v_mul_hi_u32 v2, v0, v2
	v_mul_lo_u32 v3, v2, s24
	v_add_nc_u32_e32 v5, 1, v2
	v_sub_nc_u32_e32 v3, v0, v3
	v_subrev_nc_u32_e32 v8, s24, v3
	v_cmp_le_u32_e32 vcc_lo, s24, v3
	v_cndmask_b32_e32 v3, v3, v8, vcc_lo
	v_cndmask_b32_e32 v2, v2, v5, vcc_lo
	v_cmp_le_u32_e32 vcc_lo, s24, v3
	v_add_nc_u32_e32 v5, 1, v2
	v_mov_b32_e32 v3, v4
	v_cndmask_b32_e32 v2, v2, v5, vcc_lo
	s_or_b32 exec_lo, exec_lo, s0
	s_andn2_b32 vcc_lo, exec_lo, s33
	s_cbranch_vccnz .LBB2_2
.LBB2_12:                               ;   in Loop: Header=BB2_3 Depth=1
	v_mul_lo_u32 v5, v3, s24
	v_mul_lo_u32 v12, v2, s25
	v_mad_u64_u32 v[8:9], null, v2, s24, 0
	v_mul_lo_u32 v13, v1, s26
	v_mul_lo_u32 v14, v0, s27
	v_mad_u64_u32 v[10:11], null, v0, s26, 0
	v_mul_lo_u32 v15, s53, v3
	v_mul_lo_u32 v3, v3, s12
	v_add3_u32 v5, v9, v12, v5
	v_sub_co_u32 v0, vcc_lo, v0, v8
	s_mov_b64 s[46:47], 0
	v_sub_co_ci_u32_e64 v1, null, v1, v5, vcc_lo
	v_add3_u32 v5, v11, v14, v13
	v_mul_lo_u32 v11, v0, s37
	v_mad_u64_u32 v[8:9], null, v0, s36, 0
	v_mul_lo_u32 v14, v1, s36
	v_sub_co_u32 v12, vcc_lo, v6, v10
	v_sub_co_ci_u32_e64 v13, null, v7, v5, vcc_lo
	v_mul_lo_u32 v5, s54, v2
	v_mad_u64_u32 v[0:1], null, s53, v2, v[0:1]
	v_add3_u32 v9, v9, v11, v14
	v_sub_co_u32 v8, vcc_lo, v8, s20
	v_mul_lo_u32 v18, v13, s38
	v_mul_lo_u32 v19, v12, s39
	v_subrev_co_ci_u32_e64 v9, null, s21, v9, vcc_lo
	v_add3_u32 v1, v5, v1, v15
	v_mul_lo_u32 v5, v0, s27
	v_mad_u64_u32 v[10:11], null, v12, s38, 0
	v_mad_u64_u32 v[14:15], null, v2, s12, v[8:9]
	v_mul_lo_u32 v21, v1, s26
	v_mad_u64_u32 v[0:1], null, v0, s26, 0
	v_mul_lo_u32 v22, s11, v12
	v_mul_lo_u32 v23, s10, v13
	v_mad_u64_u32 v[16:17], null, s10, v12, 0
	v_mul_lo_u32 v2, v2, s13
	v_sub_co_u32 v10, vcc_lo, v10, s22
	v_add3_u32 v1, v1, v5, v21
	v_add3_u32 v5, v11, v19, v18
	v_lshlrev_b64 v[12:13], 4, v[12:13]
	v_add3_u32 v17, v17, v23, v22
	v_add3_u32 v11, v3, v15, v2
	v_lshlrev_b64 v[0:1], 4, v[0:1]
	v_mad_u64_u32 v[2:3], null, s6, v14, v[16:17]
	v_mul_lo_u32 v14, s7, v14
	v_mul_lo_u32 v15, s6, v11
	v_subrev_co_ci_u32_e64 v11, null, s23, v5, vcc_lo
	v_add_co_u32 v0, vcc_lo, s28, v0
	v_add_co_ci_u32_e64 v1, null, s29, v1, vcc_lo
	v_add3_u32 v3, v14, v3, v15
	v_add_co_u32 v12, vcc_lo, v0, v12
	v_add_co_ci_u32_e64 v13, null, v1, v13, vcc_lo
	v_add_co_u32 v14, vcc_lo, s55, v2
	v_add_co_ci_u32_e64 v15, null, s56, v3, vcc_lo
	s_branch .LBB2_14
.LBB2_13:                               ;   in Loop: Header=BB2_14 Depth=2
	s_inst_prefetch 0x2
	v_add_co_u32 v14, vcc_lo, v14, s30
	s_add_u32 s46, s46, 1
	v_add_co_ci_u32_e64 v15, null, s31, v15, vcc_lo
	s_addc_u32 s47, s47, 0
	s_cmp_eq_u64 s[46:47], s[16:17]
	s_cbranch_scc1 .LBB2_2
.LBB2_14:                               ;   Parent Loop BB2_3 Depth=1
                                        ; =>  This Loop Header: Depth=2
                                        ;       Child Loop BB2_17 Depth 3
	s_andn2_b32 vcc_lo, exec_lo, s50
	s_cbranch_vccnz .LBB2_13
; %bb.15:                               ;   in Loop: Header=BB2_14 Depth=2
	v_mad_u64_u32 v[0:1], null, s46, s40, v[8:9]
	s_mul_i32 s0, s47, s40
	s_mul_i32 s1, s46, s41
	v_mov_b32_e32 v17, v11
	v_mov_b32_e32 v19, v15
	;; [unrolled: 1-line block ×4, first 2 shown]
	v_add3_u32 v1, s1, s0, v1
	s_mov_b64 s[48:49], s[18:19]
	v_cmp_gt_i64_e64 s0, s[12:13], v[0:1]
	v_cmp_lt_i64_e32 vcc_lo, -1, v[0:1]
	s_inst_prefetch 0x1
	s_branch .LBB2_17
	.p2align	6
.LBB2_16:                               ;   in Loop: Header=BB2_17 Depth=3
	s_or_b32 exec_lo, exec_lo, s1
	s_waitcnt vmcnt(0)
	global_store_dwordx4 v[12:13], v[0:3], off
	v_add_co_u32 v12, s1, v12, s4
	v_add_co_ci_u32_e64 v13, null, s5, v13, s1
	v_add_co_u32 v18, s1, v18, s34
	v_add_co_ci_u32_e64 v19, null, s35, v19, s1
	v_add_co_u32 v16, s1, v16, s42
	s_add_u32 s48, s48, -1
	v_add_co_ci_u32_e64 v17, null, s43, v17, s1
	s_addc_u32 s49, s49, -1
	s_cmp_eq_u64 s[48:49], 0
	s_cbranch_scc1 .LBB2_13
.LBB2_17:                               ;   Parent Loop BB2_3 Depth=1
                                        ;     Parent Loop BB2_14 Depth=2
                                        ; =>    This Inner Loop Header: Depth=3
	v_cmp_lt_i64_e64 s1, -1, v[16:17]
	v_cmp_gt_i64_e64 s2, s[14:15], v[16:17]
	v_mov_b32_e32 v0, 0
	v_mov_b32_e32 v2, 0
	;; [unrolled: 1-line block ×4, first 2 shown]
	s_and_b32 s1, vcc_lo, s1
	s_and_b32 s1, s0, s1
	s_and_b32 s2, s1, s2
	s_and_saveexec_b32 s1, s2
	s_cbranch_execz .LBB2_16
; %bb.18:                               ;   in Loop: Header=BB2_17 Depth=3
	global_load_dwordx4 v[0:3], v[18:19], off offset:-8
	s_branch .LBB2_16
.LBB2_19:
	s_endpgm
	.section	.rodata,"a",@progbits
	.p2align	6, 0x0
	.amdhsa_kernel _ZN2at6native13im2col_kernelIN3c107complexIdEEEEvlPKT_llllllllllllPS5_
		.amdhsa_group_segment_fixed_size 0
		.amdhsa_private_segment_fixed_size 0
		.amdhsa_kernarg_size 376
		.amdhsa_user_sgpr_count 6
		.amdhsa_user_sgpr_private_segment_buffer 1
		.amdhsa_user_sgpr_dispatch_ptr 0
		.amdhsa_user_sgpr_queue_ptr 0
		.amdhsa_user_sgpr_kernarg_segment_ptr 1
		.amdhsa_user_sgpr_dispatch_id 0
		.amdhsa_user_sgpr_flat_scratch_init 0
		.amdhsa_user_sgpr_private_segment_size 0
		.amdhsa_wavefront_size32 1
		.amdhsa_uses_dynamic_stack 0
		.amdhsa_system_sgpr_private_segment_wavefront_offset 0
		.amdhsa_system_sgpr_workgroup_id_x 1
		.amdhsa_system_sgpr_workgroup_id_y 0
		.amdhsa_system_sgpr_workgroup_id_z 0
		.amdhsa_system_sgpr_workgroup_info 0
		.amdhsa_system_vgpr_workitem_id 0
		.amdhsa_next_free_vgpr 24
		.amdhsa_next_free_sgpr 63
		.amdhsa_reserve_vcc 1
		.amdhsa_reserve_flat_scratch 0
		.amdhsa_float_round_mode_32 0
		.amdhsa_float_round_mode_16_64 0
		.amdhsa_float_denorm_mode_32 3
		.amdhsa_float_denorm_mode_16_64 3
		.amdhsa_dx10_clamp 1
		.amdhsa_ieee_mode 1
		.amdhsa_fp16_overflow 0
		.amdhsa_workgroup_processor_mode 1
		.amdhsa_memory_ordered 1
		.amdhsa_forward_progress 1
		.amdhsa_shared_vgpr_count 0
		.amdhsa_exception_fp_ieee_invalid_op 0
		.amdhsa_exception_fp_denorm_src 0
		.amdhsa_exception_fp_ieee_div_zero 0
		.amdhsa_exception_fp_ieee_overflow 0
		.amdhsa_exception_fp_ieee_underflow 0
		.amdhsa_exception_fp_ieee_inexact 0
		.amdhsa_exception_int_div_zero 0
	.end_amdhsa_kernel
	.section	.text._ZN2at6native13im2col_kernelIN3c107complexIdEEEEvlPKT_llllllllllllPS5_,"axG",@progbits,_ZN2at6native13im2col_kernelIN3c107complexIdEEEEvlPKT_llllllllllllPS5_,comdat
.Lfunc_end2:
	.size	_ZN2at6native13im2col_kernelIN3c107complexIdEEEEvlPKT_llllllllllllPS5_, .Lfunc_end2-_ZN2at6native13im2col_kernelIN3c107complexIdEEEEvlPKT_llllllllllllPS5_
                                        ; -- End function
	.set _ZN2at6native13im2col_kernelIN3c107complexIdEEEEvlPKT_llllllllllllPS5_.num_vgpr, 24
	.set _ZN2at6native13im2col_kernelIN3c107complexIdEEEEvlPKT_llllllllllllPS5_.num_agpr, 0
	.set _ZN2at6native13im2col_kernelIN3c107complexIdEEEEvlPKT_llllllllllllPS5_.numbered_sgpr, 63
	.set _ZN2at6native13im2col_kernelIN3c107complexIdEEEEvlPKT_llllllllllllPS5_.num_named_barrier, 0
	.set _ZN2at6native13im2col_kernelIN3c107complexIdEEEEvlPKT_llllllllllllPS5_.private_seg_size, 0
	.set _ZN2at6native13im2col_kernelIN3c107complexIdEEEEvlPKT_llllllllllllPS5_.uses_vcc, 1
	.set _ZN2at6native13im2col_kernelIN3c107complexIdEEEEvlPKT_llllllllllllPS5_.uses_flat_scratch, 0
	.set _ZN2at6native13im2col_kernelIN3c107complexIdEEEEvlPKT_llllllllllllPS5_.has_dyn_sized_stack, 0
	.set _ZN2at6native13im2col_kernelIN3c107complexIdEEEEvlPKT_llllllllllllPS5_.has_recursion, 0
	.set _ZN2at6native13im2col_kernelIN3c107complexIdEEEEvlPKT_llllllllllllPS5_.has_indirect_call, 0
	.section	.AMDGPU.csdata,"",@progbits
; Kernel info:
; codeLenInByte = 2580
; TotalNumSgprs: 65
; NumVgprs: 24
; ScratchSize: 0
; MemoryBound: 1
; FloatMode: 240
; IeeeMode: 1
; LDSByteSize: 0 bytes/workgroup (compile time only)
; SGPRBlocks: 0
; VGPRBlocks: 2
; NumSGPRsForWavesPerEU: 65
; NumVGPRsForWavesPerEU: 24
; Occupancy: 16
; WaveLimiterHint : 0
; COMPUTE_PGM_RSRC2:SCRATCH_EN: 0
; COMPUTE_PGM_RSRC2:USER_SGPR: 6
; COMPUTE_PGM_RSRC2:TRAP_HANDLER: 0
; COMPUTE_PGM_RSRC2:TGID_X_EN: 1
; COMPUTE_PGM_RSRC2:TGID_Y_EN: 0
; COMPUTE_PGM_RSRC2:TGID_Z_EN: 0
; COMPUTE_PGM_RSRC2:TIDIG_COMP_CNT: 0
	.section	.text._ZN2at6native13im2col_kernelIN3c107complexIfEEEEvlPKT_llllllllllllPS5_,"axG",@progbits,_ZN2at6native13im2col_kernelIN3c107complexIfEEEEvlPKT_llllllllllllPS5_,comdat
	.protected	_ZN2at6native13im2col_kernelIN3c107complexIfEEEEvlPKT_llllllllllllPS5_ ; -- Begin function _ZN2at6native13im2col_kernelIN3c107complexIfEEEEvlPKT_llllllllllllPS5_
	.globl	_ZN2at6native13im2col_kernelIN3c107complexIfEEEEvlPKT_llllllllllllPS5_
	.p2align	8
	.type	_ZN2at6native13im2col_kernelIN3c107complexIfEEEEvlPKT_llllllllllllPS5_,@function
_ZN2at6native13im2col_kernelIN3c107complexIfEEEEvlPKT_llllllllllllPS5_: ; @_ZN2at6native13im2col_kernelIN3c107complexIfEEEEvlPKT_llllllllllllPS5_
; %bb.0:
	s_clause 0x1
	s_load_dword s2, s[4:5], 0x84
	s_load_dwordx16 s[8:23], s[4:5], 0x0
	v_mov_b32_e32 v2, 0
	s_add_u32 s0, s4, 0x78
	s_addc_u32 s1, s5, 0
	s_mov_b32 s3, exec_lo
	v_mov_b32_e32 v1, v2
	s_waitcnt lgkmcnt(0)
	s_and_b32 s2, s2, 0xffff
	v_mad_u64_u32 v[0:1], null, s2, s6, v[0:1]
	v_cmpx_gt_i64_e64 s[8:9], v[0:1]
	s_cbranch_execz .LBB3_19
; %bb.1:
	s_load_dwordx8 s[24:31], s[4:5], 0x60
	s_load_dword s3, s[0:1], 0x0
	s_load_dwordx8 s[36:43], s[4:5], 0x40
	s_lshl_b64 s[0:1], s[22:23], 3
	v_cmp_gt_i64_e64 s33, s[16:17], 0
	v_cmp_gt_i64_e64 s50, s[18:19], 0
	s_mov_b32 s51, 0
	s_waitcnt lgkmcnt(0)
	v_cvt_f32_u32_e32 v3, s26
	s_mul_i32 s4, s18, s25
	s_mul_hi_u32 s5, s18, s24
	s_mul_i32 s6, s19, s24
	s_mul_i32 s7, s18, s24
	v_rcp_iflag_f32_e32 v3, v3
	s_mul_i32 s52, s3, s2
	s_mul_i32 s3, s26, s25
	s_mul_hi_u32 s30, s26, s24
	s_add_i32 s4, s5, s4
	s_mul_i32 s31, s27, s24
	s_mul_i32 s5, s7, s17
	s_mul_hi_u32 s34, s7, s16
	s_add_i32 s3, s30, s3
	s_add_i32 s4, s4, s6
	s_mul_i32 s2, s26, s24
	s_mul_i32 s53, s7, s16
	s_add_i32 s6, s34, s5
	s_add_i32 s3, s3, s31
	s_mul_i32 s7, s4, s16
	s_lshl_b64 s[4:5], s[2:3], 3
	s_add_i32 s54, s6, s7
	s_sub_u32 s0, 4, s0
	s_subb_u32 s1, 0, s1
	v_mul_f32_e32 v3, 0x4f7ffffe, v3
	s_add_u32 s55, s10, s0
	s_addc_u32 s56, s11, s1
	s_mul_i32 s0, s40, s15
	s_mul_hi_u32 s1, s40, s14
	v_cvt_u32_f32_e32 v17, v3
	s_add_i32 s0, s1, s0
	s_mul_i32 s1, s41, s14
	s_lshl_b64 s[6:7], s[14:15], 3
	s_add_i32 s1, s0, s1
	s_mul_i32 s0, s40, s14
	s_lshl_b64 s[10:11], s[38:39], 3
	s_lshl_b64 s[30:31], s[0:1], 3
	;; [unrolled: 1-line block ×3, first 2 shown]
	s_ashr_i32 s44, s27, 31
	s_branch .LBB3_3
.LBB3_2:                                ;   in Loop: Header=BB3_3 Depth=1
	v_add_co_u32 v0, vcc_lo, v0, s52
	v_add_co_ci_u32_e64 v1, null, 0, v1, vcc_lo
	v_cmp_le_i64_e32 vcc_lo, s[8:9], v[0:1]
	s_or_b32 s51, vcc_lo, s51
	s_andn2_b32 exec_lo, exec_lo, s51
	s_cbranch_execz .LBB3_19
.LBB3_3:                                ; =>This Loop Header: Depth=1
                                        ;     Child Loop BB3_14 Depth 2
                                        ;       Child Loop BB3_17 Depth 3
	v_or_b32_e32 v3, s27, v1
                                        ; implicit-def: $vgpr4_vgpr5
	s_mov_b32 s0, exec_lo
	v_cmpx_ne_u64_e32 0, v[2:3]
	s_xor_b32 s1, exec_lo, s0
	s_cbranch_execz .LBB3_5
; %bb.4:                                ;   in Loop: Header=BB3_3 Depth=1
	s_add_u32 s2, s26, s44
	s_mov_b32 s45, s44
	s_addc_u32 s3, s27, s44
	v_ashrrev_i32_e32 v9, 31, v1
	s_xor_b64 s[2:3], s[2:3], s[44:45]
	v_cvt_f32_u32_e32 v3, s2
	v_cvt_f32_u32_e32 v4, s3
	s_sub_u32 s0, 0, s2
	s_subb_u32 s47, 0, s3
	v_add_co_u32 v5, vcc_lo, v0, v9
	v_fmac_f32_e32 v3, 0x4f800000, v4
	v_xor_b32_e32 v10, v5, v9
	v_rcp_f32_e32 v3, v3
	v_mul_f32_e32 v3, 0x5f7ffffc, v3
	v_mul_f32_e32 v4, 0x2f800000, v3
	v_trunc_f32_e32 v4, v4
	v_fmac_f32_e32 v3, 0xcf800000, v4
	v_cvt_u32_f32_e32 v4, v4
	v_cvt_u32_f32_e32 v3, v3
	v_readfirstlane_b32 s45, v4
	v_readfirstlane_b32 s46, v3
	s_mul_i32 s48, s0, s45
	v_add_co_ci_u32_e64 v3, null, v1, v9, vcc_lo
	s_mul_hi_u32 s57, s0, s46
	s_mul_i32 s49, s47, s46
	s_add_i32 s48, s57, s48
	s_mul_i32 s58, s0, s46
	s_add_i32 s48, s48, s49
	s_mul_hi_u32 s57, s46, s58
	s_mul_i32 s60, s46, s48
	s_mul_hi_u32 s59, s45, s58
	s_mul_i32 s49, s45, s58
	s_mul_hi_u32 s58, s46, s48
	s_add_u32 s57, s57, s60
	s_addc_u32 s58, 0, s58
	s_mul_hi_u32 s61, s45, s48
	s_add_u32 s49, s57, s49
	s_mul_i32 s48, s45, s48
	s_addc_u32 s49, s58, s59
	s_addc_u32 s57, s61, 0
	s_add_u32 s48, s49, s48
	s_addc_u32 s49, 0, s57
	s_add_u32 s46, s46, s48
	s_cselect_b32 s48, -1, 0
	s_mul_hi_u32 s57, s0, s46
	s_cmp_lg_u32 s48, 0
	s_mul_i32 s48, s0, s46
	s_addc_u32 s45, s45, s49
	s_mul_i32 s47, s47, s46
	s_mul_i32 s0, s0, s45
	s_mul_hi_u32 s49, s46, s48
	s_add_i32 s0, s57, s0
	s_mul_hi_u32 s57, s45, s48
	s_add_i32 s0, s0, s47
	s_mul_i32 s47, s45, s48
	s_mul_i32 s59, s46, s0
	s_mul_hi_u32 s58, s46, s0
	s_add_u32 s49, s49, s59
	s_addc_u32 s58, 0, s58
	s_mul_hi_u32 s48, s45, s0
	s_add_u32 s47, s49, s47
	s_mul_i32 s0, s45, s0
	s_addc_u32 s47, s58, s57
	s_addc_u32 s48, s48, 0
	s_add_u32 s0, s47, s0
	s_addc_u32 s47, 0, s48
	s_add_u32 s0, s46, s0
	s_cselect_b32 s46, -1, 0
	v_xor_b32_e32 v11, v3, v9
	s_cmp_lg_u32 s46, 0
	v_mul_hi_u32 v12, v10, s0
	s_addc_u32 s45, s45, s47
	v_mad_u64_u32 v[3:4], null, v10, s45, 0
	v_mad_u64_u32 v[5:6], null, v11, s0, 0
	;; [unrolled: 1-line block ×3, first 2 shown]
	v_add_co_u32 v3, vcc_lo, v12, v3
	v_add_co_ci_u32_e64 v4, null, 0, v4, vcc_lo
	v_add_co_u32 v3, vcc_lo, v3, v5
	v_add_co_ci_u32_e32 v3, vcc_lo, v4, v6, vcc_lo
	v_add_co_ci_u32_e32 v4, vcc_lo, 0, v8, vcc_lo
	v_add_co_u32 v5, vcc_lo, v3, v7
	v_add_co_ci_u32_e64 v6, null, 0, v4, vcc_lo
	v_mul_lo_u32 v7, s3, v5
	v_mad_u64_u32 v[3:4], null, s2, v5, 0
	v_mul_lo_u32 v8, s2, v6
	v_sub_co_u32 v3, vcc_lo, v10, v3
	v_add3_u32 v4, v4, v8, v7
	v_add_co_u32 v8, s0, v5, 2
	v_add_co_ci_u32_e64 v10, null, 0, v6, s0
	v_sub_nc_u32_e32 v7, v11, v4
	v_sub_co_u32 v12, s0, v3, s2
	v_sub_co_ci_u32_e64 v4, null, v11, v4, vcc_lo
	v_subrev_co_ci_u32_e64 v7, null, s3, v7, vcc_lo
	v_cmp_le_u32_e32 vcc_lo, s2, v12
	v_subrev_co_ci_u32_e64 v7, null, 0, v7, s0
	v_cndmask_b32_e64 v11, 0, -1, vcc_lo
	v_cmp_le_u32_e32 vcc_lo, s3, v7
	v_cndmask_b32_e64 v12, 0, -1, vcc_lo
	v_cmp_le_u32_e32 vcc_lo, s2, v3
	;; [unrolled: 2-line block ×3, first 2 shown]
	v_cndmask_b32_e64 v13, 0, -1, vcc_lo
	v_cmp_eq_u32_e32 vcc_lo, s3, v7
	v_cndmask_b32_e32 v7, v12, v11, vcc_lo
	v_add_co_u32 v11, vcc_lo, v5, 1
	v_add_co_ci_u32_e64 v12, null, 0, v6, vcc_lo
	v_cmp_eq_u32_e32 vcc_lo, s3, v4
	v_cndmask_b32_e32 v3, v13, v3, vcc_lo
	v_cmp_ne_u32_e32 vcc_lo, 0, v7
	v_xor_b32_e32 v7, s44, v9
	v_cmp_ne_u32_e64 s0, 0, v3
	v_cndmask_b32_e32 v3, v11, v8, vcc_lo
	v_cndmask_b32_e32 v4, v12, v10, vcc_lo
	v_cndmask_b32_e64 v3, v5, v3, s0
	v_cndmask_b32_e64 v4, v6, v4, s0
	v_xor_b32_e32 v3, v3, v7
	v_xor_b32_e32 v5, v4, v7
	v_sub_co_u32 v4, vcc_lo, v3, v7
	v_sub_co_ci_u32_e64 v5, null, v5, v7, vcc_lo
.LBB3_5:                                ;   in Loop: Header=BB3_3 Depth=1
	s_andn2_saveexec_b32 s0, s1
	s_cbranch_execz .LBB3_7
; %bb.6:                                ;   in Loop: Header=BB3_3 Depth=1
	s_sub_i32 s1, 0, s26
	v_mul_lo_u32 v3, s1, v17
	v_mul_hi_u32 v3, v17, v3
	v_add_nc_u32_e32 v3, v17, v3
	v_mul_hi_u32 v3, v0, v3
	v_mul_lo_u32 v4, v3, s26
	v_add_nc_u32_e32 v5, 1, v3
	v_sub_nc_u32_e32 v4, v0, v4
	v_subrev_nc_u32_e32 v6, s26, v4
	v_cmp_le_u32_e32 vcc_lo, s26, v4
	v_cndmask_b32_e32 v4, v4, v6, vcc_lo
	v_cndmask_b32_e32 v3, v3, v5, vcc_lo
	v_cmp_le_u32_e32 vcc_lo, s26, v4
	v_add_nc_u32_e32 v5, 1, v3
	v_cndmask_b32_e32 v4, v3, v5, vcc_lo
	v_mov_b32_e32 v5, v2
.LBB3_7:                                ;   in Loop: Header=BB3_3 Depth=1
	s_or_b32 exec_lo, exec_lo, s0
	v_or_b32_e32 v3, s25, v5
                                        ; implicit-def: $vgpr6_vgpr7
	s_mov_b32 s0, exec_lo
	v_cmpx_ne_u64_e32 0, v[2:3]
	s_xor_b32 s1, exec_lo, s0
	s_cbranch_execnz .LBB3_10
; %bb.8:                                ;   in Loop: Header=BB3_3 Depth=1
	s_andn2_saveexec_b32 s0, s1
	s_cbranch_execnz .LBB3_11
.LBB3_9:                                ;   in Loop: Header=BB3_3 Depth=1
	s_or_b32 exec_lo, exec_lo, s0
	s_andn2_b32 vcc_lo, exec_lo, s33
	s_cbranch_vccz .LBB3_12
	s_branch .LBB3_2
.LBB3_10:                               ;   in Loop: Header=BB3_3 Depth=1
	s_ashr_i32 s2, s25, 31
	v_ashrrev_i32_e32 v12, 31, v5
	s_add_u32 s46, s24, s2
	s_mov_b32 s3, s2
	s_addc_u32 s47, s25, s2
	s_xor_b64 s[46:47], s[46:47], s[2:3]
	v_add_co_u32 v7, vcc_lo, v4, v12
	v_cvt_f32_u32_e32 v3, s46
	v_cvt_f32_u32_e32 v6, s47
	s_sub_u32 s45, 0, s46
	s_subb_u32 s48, 0, s47
	v_add_co_ci_u32_e64 v8, null, v5, v12, vcc_lo
	v_fmac_f32_e32 v3, 0x4f800000, v6
	v_xor_b32_e32 v13, v8, v12
	v_rcp_f32_e32 v3, v3
	v_mul_f32_e32 v3, 0x5f7ffffc, v3
	v_mul_f32_e32 v6, 0x2f800000, v3
	v_trunc_f32_e32 v6, v6
	v_fmac_f32_e32 v3, 0xcf800000, v6
	v_cvt_u32_f32_e32 v6, v6
	v_cvt_u32_f32_e32 v3, v3
	v_readfirstlane_b32 s0, v6
	v_readfirstlane_b32 s3, v3
	s_mul_i32 s49, s45, s0
	v_xor_b32_e32 v3, v7, v12
	s_mul_hi_u32 s58, s45, s3
	s_mul_i32 s57, s48, s3
	s_add_i32 s49, s58, s49
	s_mul_i32 s59, s45, s3
	s_add_i32 s49, s49, s57
	s_mul_hi_u32 s58, s3, s59
	s_mul_i32 s61, s3, s49
	s_mul_hi_u32 s60, s0, s59
	s_mul_i32 s57, s0, s59
	s_mul_hi_u32 s59, s3, s49
	s_add_u32 s58, s58, s61
	s_addc_u32 s59, 0, s59
	s_mul_hi_u32 s62, s0, s49
	s_add_u32 s57, s58, s57
	s_mul_i32 s49, s0, s49
	s_addc_u32 s57, s59, s60
	s_addc_u32 s58, s62, 0
	s_add_u32 s49, s57, s49
	s_addc_u32 s57, 0, s58
	s_add_u32 s3, s3, s49
	s_cselect_b32 s49, -1, 0
	s_mul_hi_u32 s58, s45, s3
	s_cmp_lg_u32 s49, 0
	s_mul_i32 s49, s45, s3
	s_addc_u32 s0, s0, s57
	s_mul_i32 s48, s48, s3
	s_mul_i32 s45, s45, s0
	s_mul_hi_u32 s57, s3, s49
	s_add_i32 s45, s58, s45
	s_mul_hi_u32 s58, s0, s49
	s_add_i32 s45, s45, s48
	s_mul_i32 s48, s0, s49
	s_mul_i32 s60, s3, s45
	s_mul_hi_u32 s59, s3, s45
	s_add_u32 s57, s57, s60
	s_addc_u32 s59, 0, s59
	s_mul_hi_u32 s49, s0, s45
	s_add_u32 s48, s57, s48
	s_mul_i32 s45, s0, s45
	s_addc_u32 s48, s59, s58
	s_addc_u32 s49, s49, 0
	s_add_u32 s45, s48, s45
	s_addc_u32 s48, 0, s49
	s_add_u32 s3, s3, s45
	s_cselect_b32 s45, -1, 0
	v_mul_hi_u32 v14, v3, s3
	s_cmp_lg_u32 s45, 0
	v_mad_u64_u32 v[8:9], null, v13, s3, 0
	s_addc_u32 s0, s0, s48
	v_mad_u64_u32 v[6:7], null, v3, s0, 0
	v_mad_u64_u32 v[10:11], null, v13, s0, 0
	v_add_co_u32 v6, vcc_lo, v14, v6
	v_add_co_ci_u32_e64 v7, null, 0, v7, vcc_lo
	v_add_co_u32 v6, vcc_lo, v6, v8
	v_add_co_ci_u32_e32 v6, vcc_lo, v7, v9, vcc_lo
	v_add_co_ci_u32_e32 v7, vcc_lo, 0, v11, vcc_lo
	v_add_co_u32 v8, vcc_lo, v6, v10
	v_add_co_ci_u32_e64 v9, null, 0, v7, vcc_lo
	v_mul_lo_u32 v10, s47, v8
	v_mad_u64_u32 v[6:7], null, s46, v8, 0
	v_mul_lo_u32 v11, s46, v9
	v_sub_co_u32 v3, vcc_lo, v3, v6
	v_add3_u32 v7, v7, v11, v10
	v_sub_nc_u32_e32 v10, v13, v7
	v_sub_co_ci_u32_e64 v7, null, v13, v7, vcc_lo
	v_subrev_co_ci_u32_e64 v6, null, s47, v10, vcc_lo
	v_add_co_u32 v10, s0, v8, 2
	v_add_co_ci_u32_e64 v11, null, 0, v9, s0
	v_sub_co_u32 v14, s0, v3, s46
	v_subrev_co_ci_u32_e64 v6, null, 0, v6, s0
	v_cmp_le_u32_e32 vcc_lo, s46, v14
	v_cndmask_b32_e64 v13, 0, -1, vcc_lo
	v_cmp_le_u32_e32 vcc_lo, s47, v6
	v_cndmask_b32_e64 v14, 0, -1, vcc_lo
	;; [unrolled: 2-line block ×4, first 2 shown]
	v_cmp_eq_u32_e32 vcc_lo, s47, v6
	v_cndmask_b32_e32 v6, v14, v13, vcc_lo
	v_add_co_u32 v13, vcc_lo, v8, 1
	v_add_co_ci_u32_e64 v14, null, 0, v9, vcc_lo
	v_cmp_eq_u32_e32 vcc_lo, s47, v7
	v_xor_b32_e32 v7, s2, v12
	v_cndmask_b32_e32 v3, v15, v3, vcc_lo
	v_cmp_ne_u32_e32 vcc_lo, 0, v6
	v_cmp_ne_u32_e64 s0, 0, v3
	v_cndmask_b32_e32 v3, v13, v10, vcc_lo
	v_cndmask_b32_e32 v6, v14, v11, vcc_lo
	v_cndmask_b32_e64 v3, v8, v3, s0
	v_cndmask_b32_e64 v6, v9, v6, s0
	v_xor_b32_e32 v3, v3, v7
	v_xor_b32_e32 v8, v6, v7
	v_sub_co_u32 v6, vcc_lo, v3, v7
	v_sub_co_ci_u32_e64 v7, null, v8, v7, vcc_lo
	s_andn2_saveexec_b32 s0, s1
	s_cbranch_execz .LBB3_9
.LBB3_11:                               ;   in Loop: Header=BB3_3 Depth=1
	v_cvt_f32_u32_e32 v3, s24
	s_sub_i32 s1, 0, s24
	v_rcp_iflag_f32_e32 v3, v3
	v_mul_f32_e32 v3, 0x4f7ffffe, v3
	v_cvt_u32_f32_e32 v3, v3
	v_mul_lo_u32 v6, s1, v3
	v_mul_hi_u32 v6, v3, v6
	v_add_nc_u32_e32 v3, v3, v6
	v_mul_hi_u32 v3, v4, v3
	v_mul_lo_u32 v6, v3, s24
	v_add_nc_u32_e32 v7, 1, v3
	v_sub_nc_u32_e32 v6, v4, v6
	v_subrev_nc_u32_e32 v8, s24, v6
	v_cmp_le_u32_e32 vcc_lo, s24, v6
	v_cndmask_b32_e32 v6, v6, v8, vcc_lo
	v_cndmask_b32_e32 v3, v3, v7, vcc_lo
	v_cmp_le_u32_e32 vcc_lo, s24, v6
	v_add_nc_u32_e32 v7, 1, v3
	v_cndmask_b32_e32 v6, v3, v7, vcc_lo
	v_mov_b32_e32 v7, v2
	s_or_b32 exec_lo, exec_lo, s0
	s_andn2_b32 vcc_lo, exec_lo, s33
	s_cbranch_vccnz .LBB3_2
.LBB3_12:                               ;   in Loop: Header=BB3_3 Depth=1
	v_mul_lo_u32 v3, v7, s24
	v_mul_lo_u32 v12, v6, s25
	v_mad_u64_u32 v[8:9], null, v6, s24, 0
	v_mul_lo_u32 v13, v5, s26
	v_mul_lo_u32 v14, v4, s27
	v_mad_u64_u32 v[10:11], null, v4, s26, 0
	v_mul_lo_u32 v15, s53, v7
	v_mul_lo_u32 v7, v7, s12
	v_add3_u32 v9, v9, v12, v3
	v_sub_co_u32 v3, vcc_lo, v4, v8
	s_mov_b64 s[46:47], 0
	v_sub_co_ci_u32_e64 v4, null, v5, v9, vcc_lo
	v_add3_u32 v5, v11, v14, v13
	v_mul_lo_u32 v14, v3, s37
	v_mad_u64_u32 v[8:9], null, v3, s36, 0
	v_mul_lo_u32 v16, v4, s36
	v_sub_co_u32 v10, vcc_lo, v0, v10
	v_sub_co_ci_u32_e64 v11, null, v1, v5, vcc_lo
	v_mul_lo_u32 v5, s54, v6
	v_mad_u64_u32 v[12:13], null, s53, v6, v[3:4]
	v_add3_u32 v4, v9, v14, v16
	v_sub_co_u32 v3, vcc_lo, v8, s20
	v_mul_lo_u32 v23, s10, v11
	v_mad_u64_u32 v[18:19], null, s10, v10, 0
	v_add3_u32 v5, v5, v13, v15
	v_subrev_co_ci_u32_e64 v4, null, s21, v4, vcc_lo
	v_mul_lo_u32 v22, v12, s27
	v_mad_u64_u32 v[15:16], null, v12, s26, 0
	v_mul_lo_u32 v5, v5, s26
	v_mad_u64_u32 v[13:14], null, v6, s12, v[3:4]
	v_mul_lo_u32 v12, s11, v10
	v_mul_lo_u32 v6, v6, s13
	;; [unrolled: 1-line block ×4, first 2 shown]
	v_mad_u64_u32 v[8:9], null, v10, s38, 0
	v_add3_u32 v16, v16, v22, v5
	v_add3_u32 v19, v19, v23, v12
	;; [unrolled: 1-line block ×3, first 2 shown]
	v_mul_lo_u32 v12, s7, v13
	v_lshlrev_b64 v[14:15], 3, v[15:16]
	v_add3_u32 v9, v9, v21, v20
	v_mad_u64_u32 v[18:19], null, s6, v13, v[18:19]
	v_mul_lo_u32 v13, s6, v5
	v_sub_co_u32 v5, vcc_lo, v8, s22
	v_lshlrev_b64 v[7:8], 3, v[10:11]
	v_subrev_co_ci_u32_e64 v6, null, s23, v9, vcc_lo
	v_add_co_u32 v9, vcc_lo, s28, v14
	v_add_co_ci_u32_e64 v10, null, s29, v15, vcc_lo
	v_add3_u32 v11, v12, v19, v13
	v_add_co_u32 v7, vcc_lo, v9, v7
	v_add_co_ci_u32_e64 v8, null, v10, v8, vcc_lo
	v_add_co_u32 v9, vcc_lo, s55, v18
	v_add_co_ci_u32_e64 v10, null, s56, v11, vcc_lo
	s_branch .LBB3_14
.LBB3_13:                               ;   in Loop: Header=BB3_14 Depth=2
	s_inst_prefetch 0x2
	v_add_co_u32 v9, vcc_lo, v9, s30
	s_add_u32 s46, s46, 1
	v_add_co_ci_u32_e64 v10, null, s31, v10, vcc_lo
	s_addc_u32 s47, s47, 0
	s_cmp_eq_u64 s[46:47], s[16:17]
	s_cbranch_scc1 .LBB3_2
.LBB3_14:                               ;   Parent Loop BB3_3 Depth=1
                                        ; =>  This Loop Header: Depth=2
                                        ;       Child Loop BB3_17 Depth 3
	s_andn2_b32 vcc_lo, exec_lo, s50
	s_cbranch_vccnz .LBB3_13
; %bb.15:                               ;   in Loop: Header=BB3_14 Depth=2
	v_mad_u64_u32 v[11:12], null, s46, s40, v[3:4]
	s_mul_i32 s0, s47, s40
	s_mul_i32 s1, s46, s41
	v_mov_b32_e32 v14, v10
	v_mov_b32_e32 v13, v9
	s_mov_b64 s[48:49], s[18:19]
	v_add3_u32 v12, s1, s0, v12
	v_cmp_lt_i64_e32 vcc_lo, -1, v[11:12]
	v_cmp_gt_i64_e64 s0, s[12:13], v[11:12]
	v_mov_b32_e32 v12, v6
	v_mov_b32_e32 v11, v5
	s_inst_prefetch 0x1
	s_branch .LBB3_17
	.p2align	6
.LBB3_16:                               ;   in Loop: Header=BB3_17 Depth=3
	s_or_b32 exec_lo, exec_lo, s1
	s_waitcnt vmcnt(0)
	global_store_dwordx2 v[7:8], v[15:16], off
	v_add_co_u32 v7, s1, v7, s4
	v_add_co_ci_u32_e64 v8, null, s5, v8, s1
	v_add_co_u32 v13, s1, v13, s34
	v_add_co_ci_u32_e64 v14, null, s35, v14, s1
	v_add_co_u32 v11, s1, v11, s42
	s_add_u32 s48, s48, -1
	v_add_co_ci_u32_e64 v12, null, s43, v12, s1
	s_addc_u32 s49, s49, -1
	s_cmp_eq_u64 s[48:49], 0
	s_cbranch_scc1 .LBB3_13
.LBB3_17:                               ;   Parent Loop BB3_3 Depth=1
                                        ;     Parent Loop BB3_14 Depth=2
                                        ; =>    This Inner Loop Header: Depth=3
	v_cmp_lt_i64_e64 s1, -1, v[11:12]
	v_cmp_gt_i64_e64 s2, s[14:15], v[11:12]
	v_mov_b32_e32 v15, 0
	v_mov_b32_e32 v16, 0
	s_and_b32 s1, vcc_lo, s1
	s_and_b32 s1, s0, s1
	s_and_b32 s2, s1, s2
	s_and_saveexec_b32 s1, s2
	s_cbranch_execz .LBB3_16
; %bb.18:                               ;   in Loop: Header=BB3_17 Depth=3
	global_load_dwordx2 v[15:16], v[13:14], off offset:-4
	s_branch .LBB3_16
.LBB3_19:
	s_endpgm
	.section	.rodata,"a",@progbits
	.p2align	6, 0x0
	.amdhsa_kernel _ZN2at6native13im2col_kernelIN3c107complexIfEEEEvlPKT_llllllllllllPS5_
		.amdhsa_group_segment_fixed_size 0
		.amdhsa_private_segment_fixed_size 0
		.amdhsa_kernarg_size 376
		.amdhsa_user_sgpr_count 6
		.amdhsa_user_sgpr_private_segment_buffer 1
		.amdhsa_user_sgpr_dispatch_ptr 0
		.amdhsa_user_sgpr_queue_ptr 0
		.amdhsa_user_sgpr_kernarg_segment_ptr 1
		.amdhsa_user_sgpr_dispatch_id 0
		.amdhsa_user_sgpr_flat_scratch_init 0
		.amdhsa_user_sgpr_private_segment_size 0
		.amdhsa_wavefront_size32 1
		.amdhsa_uses_dynamic_stack 0
		.amdhsa_system_sgpr_private_segment_wavefront_offset 0
		.amdhsa_system_sgpr_workgroup_id_x 1
		.amdhsa_system_sgpr_workgroup_id_y 0
		.amdhsa_system_sgpr_workgroup_id_z 0
		.amdhsa_system_sgpr_workgroup_info 0
		.amdhsa_system_vgpr_workitem_id 0
		.amdhsa_next_free_vgpr 24
		.amdhsa_next_free_sgpr 63
		.amdhsa_reserve_vcc 1
		.amdhsa_reserve_flat_scratch 0
		.amdhsa_float_round_mode_32 0
		.amdhsa_float_round_mode_16_64 0
		.amdhsa_float_denorm_mode_32 3
		.amdhsa_float_denorm_mode_16_64 3
		.amdhsa_dx10_clamp 1
		.amdhsa_ieee_mode 1
		.amdhsa_fp16_overflow 0
		.amdhsa_workgroup_processor_mode 1
		.amdhsa_memory_ordered 1
		.amdhsa_forward_progress 1
		.amdhsa_shared_vgpr_count 0
		.amdhsa_exception_fp_ieee_invalid_op 0
		.amdhsa_exception_fp_denorm_src 0
		.amdhsa_exception_fp_ieee_div_zero 0
		.amdhsa_exception_fp_ieee_overflow 0
		.amdhsa_exception_fp_ieee_underflow 0
		.amdhsa_exception_fp_ieee_inexact 0
		.amdhsa_exception_int_div_zero 0
	.end_amdhsa_kernel
	.section	.text._ZN2at6native13im2col_kernelIN3c107complexIfEEEEvlPKT_llllllllllllPS5_,"axG",@progbits,_ZN2at6native13im2col_kernelIN3c107complexIfEEEEvlPKT_llllllllllllPS5_,comdat
.Lfunc_end3:
	.size	_ZN2at6native13im2col_kernelIN3c107complexIfEEEEvlPKT_llllllllllllPS5_, .Lfunc_end3-_ZN2at6native13im2col_kernelIN3c107complexIfEEEEvlPKT_llllllllllllPS5_
                                        ; -- End function
	.set _ZN2at6native13im2col_kernelIN3c107complexIfEEEEvlPKT_llllllllllllPS5_.num_vgpr, 24
	.set _ZN2at6native13im2col_kernelIN3c107complexIfEEEEvlPKT_llllllllllllPS5_.num_agpr, 0
	.set _ZN2at6native13im2col_kernelIN3c107complexIfEEEEvlPKT_llllllllllllPS5_.numbered_sgpr, 63
	.set _ZN2at6native13im2col_kernelIN3c107complexIfEEEEvlPKT_llllllllllllPS5_.num_named_barrier, 0
	.set _ZN2at6native13im2col_kernelIN3c107complexIfEEEEvlPKT_llllllllllllPS5_.private_seg_size, 0
	.set _ZN2at6native13im2col_kernelIN3c107complexIfEEEEvlPKT_llllllllllllPS5_.uses_vcc, 1
	.set _ZN2at6native13im2col_kernelIN3c107complexIfEEEEvlPKT_llllllllllllPS5_.uses_flat_scratch, 0
	.set _ZN2at6native13im2col_kernelIN3c107complexIfEEEEvlPKT_llllllllllllPS5_.has_dyn_sized_stack, 0
	.set _ZN2at6native13im2col_kernelIN3c107complexIfEEEEvlPKT_llllllllllllPS5_.has_recursion, 0
	.set _ZN2at6native13im2col_kernelIN3c107complexIfEEEEvlPKT_llllllllllllPS5_.has_indirect_call, 0
	.section	.AMDGPU.csdata,"",@progbits
; Kernel info:
; codeLenInByte = 2572
; TotalNumSgprs: 65
; NumVgprs: 24
; ScratchSize: 0
; MemoryBound: 0
; FloatMode: 240
; IeeeMode: 1
; LDSByteSize: 0 bytes/workgroup (compile time only)
; SGPRBlocks: 0
; VGPRBlocks: 2
; NumSGPRsForWavesPerEU: 65
; NumVGPRsForWavesPerEU: 24
; Occupancy: 16
; WaveLimiterHint : 0
; COMPUTE_PGM_RSRC2:SCRATCH_EN: 0
; COMPUTE_PGM_RSRC2:USER_SGPR: 6
; COMPUTE_PGM_RSRC2:TRAP_HANDLER: 0
; COMPUTE_PGM_RSRC2:TGID_X_EN: 1
; COMPUTE_PGM_RSRC2:TGID_Y_EN: 0
; COMPUTE_PGM_RSRC2:TGID_Z_EN: 0
; COMPUTE_PGM_RSRC2:TIDIG_COMP_CNT: 0
	.section	.text._ZN2at6native13im2col_kernelIN3c104HalfEEEvlPKT_llllllllllllPS4_,"axG",@progbits,_ZN2at6native13im2col_kernelIN3c104HalfEEEvlPKT_llllllllllllPS4_,comdat
	.protected	_ZN2at6native13im2col_kernelIN3c104HalfEEEvlPKT_llllllllllllPS4_ ; -- Begin function _ZN2at6native13im2col_kernelIN3c104HalfEEEvlPKT_llllllllllllPS4_
	.globl	_ZN2at6native13im2col_kernelIN3c104HalfEEEvlPKT_llllllllllllPS4_
	.p2align	8
	.type	_ZN2at6native13im2col_kernelIN3c104HalfEEEvlPKT_llllllllllllPS4_,@function
_ZN2at6native13im2col_kernelIN3c104HalfEEEvlPKT_llllllllllllPS4_: ; @_ZN2at6native13im2col_kernelIN3c104HalfEEEvlPKT_llllllllllllPS4_
; %bb.0:
	s_clause 0x1
	s_load_dword s2, s[4:5], 0x84
	s_load_dwordx16 s[8:23], s[4:5], 0x0
	v_mov_b32_e32 v2, 0
	s_add_u32 s0, s4, 0x78
	s_addc_u32 s1, s5, 0
	s_mov_b32 s3, exec_lo
	v_mov_b32_e32 v1, v2
	s_waitcnt lgkmcnt(0)
	s_and_b32 s2, s2, 0xffff
	v_mad_u64_u32 v[0:1], null, s2, s6, v[0:1]
	v_cmpx_gt_i64_e64 s[8:9], v[0:1]
	s_cbranch_execz .LBB4_19
; %bb.1:
	s_load_dwordx8 s[24:31], s[4:5], 0x60
	s_load_dword s3, s[0:1], 0x0
	s_load_dwordx8 s[36:43], s[4:5], 0x40
	s_lshl_b64 s[0:1], s[22:23], 1
	v_cmp_gt_i64_e64 s33, s[16:17], 0
	v_cmp_gt_i64_e64 s50, s[18:19], 0
	s_mov_b32 s51, 0
	s_waitcnt lgkmcnt(0)
	v_cvt_f32_u32_e32 v3, s26
	s_mul_i32 s4, s18, s25
	s_mul_hi_u32 s5, s18, s24
	s_mul_i32 s6, s19, s24
	s_mul_i32 s7, s18, s24
	v_rcp_iflag_f32_e32 v3, v3
	s_add_i32 s4, s5, s4
	s_mul_i32 s5, s7, s17
	s_mul_hi_u32 s35, s7, s16
	s_add_i32 s4, s4, s6
	s_add_i32 s5, s35, s5
	s_mul_i32 s4, s4, s16
	s_mul_i32 s52, s3, s2
	s_add_i32 s54, s5, s4
	s_sub_u32 s0, 0, s0
	s_mul_i32 s2, s40, s15
	s_mul_hi_u32 s3, s40, s14
	s_subb_u32 s1, 0, s1
	v_mul_f32_e32 v3, 0x4f7ffffe, v3
	s_add_u32 s55, s10, s0
	s_mul_i32 s30, s41, s14
	s_mul_i32 s31, s26, s25
	s_mul_hi_u32 s34, s26, s24
	s_addc_u32 s56, s11, s1
	s_add_i32 s0, s3, s2
	s_add_i32 s2, s34, s31
	;; [unrolled: 1-line block ×3, first 2 shown]
	s_mul_i32 s0, s40, s14
	s_mul_i32 s3, s27, s24
	v_cvt_u32_f32_e32 v15, v3
	s_lshl_b64 s[10:11], s[0:1], 1
	s_add_i32 s1, s2, s3
	s_mul_i32 s0, s26, s24
	s_mul_i32 s53, s7, s16
	s_lshl_b64 s[4:5], s[14:15], 1
	s_lshl_b64 s[6:7], s[38:39], 1
	;; [unrolled: 1-line block ×4, first 2 shown]
	s_ashr_i32 s44, s27, 31
	s_branch .LBB4_3
.LBB4_2:                                ;   in Loop: Header=BB4_3 Depth=1
	v_add_co_u32 v0, vcc_lo, v0, s52
	v_add_co_ci_u32_e64 v1, null, 0, v1, vcc_lo
	v_cmp_le_i64_e32 vcc_lo, s[8:9], v[0:1]
	s_or_b32 s51, vcc_lo, s51
	s_andn2_b32 exec_lo, exec_lo, s51
	s_cbranch_execz .LBB4_19
.LBB4_3:                                ; =>This Loop Header: Depth=1
                                        ;     Child Loop BB4_14 Depth 2
                                        ;       Child Loop BB4_17 Depth 3
	v_or_b32_e32 v3, s27, v1
                                        ; implicit-def: $vgpr4_vgpr5
	s_mov_b32 s0, exec_lo
	v_cmpx_ne_u64_e32 0, v[2:3]
	s_xor_b32 s1, exec_lo, s0
	s_cbranch_execz .LBB4_5
; %bb.4:                                ;   in Loop: Header=BB4_3 Depth=1
	s_add_u32 s2, s26, s44
	s_mov_b32 s45, s44
	s_addc_u32 s3, s27, s44
	v_ashrrev_i32_e32 v9, 31, v1
	s_xor_b64 s[2:3], s[2:3], s[44:45]
	v_cvt_f32_u32_e32 v3, s2
	v_cvt_f32_u32_e32 v4, s3
	s_sub_u32 s0, 0, s2
	s_subb_u32 s47, 0, s3
	v_add_co_u32 v5, vcc_lo, v0, v9
	v_fmac_f32_e32 v3, 0x4f800000, v4
	v_xor_b32_e32 v10, v5, v9
	v_rcp_f32_e32 v3, v3
	v_mul_f32_e32 v3, 0x5f7ffffc, v3
	v_mul_f32_e32 v4, 0x2f800000, v3
	v_trunc_f32_e32 v4, v4
	v_fmac_f32_e32 v3, 0xcf800000, v4
	v_cvt_u32_f32_e32 v4, v4
	v_cvt_u32_f32_e32 v3, v3
	v_readfirstlane_b32 s45, v4
	v_readfirstlane_b32 s46, v3
	s_mul_i32 s48, s0, s45
	v_add_co_ci_u32_e64 v3, null, v1, v9, vcc_lo
	s_mul_hi_u32 s57, s0, s46
	s_mul_i32 s49, s47, s46
	s_add_i32 s48, s57, s48
	s_mul_i32 s58, s0, s46
	s_add_i32 s48, s48, s49
	s_mul_hi_u32 s57, s46, s58
	s_mul_i32 s60, s46, s48
	s_mul_hi_u32 s59, s45, s58
	s_mul_i32 s49, s45, s58
	s_mul_hi_u32 s58, s46, s48
	s_add_u32 s57, s57, s60
	s_addc_u32 s58, 0, s58
	s_mul_hi_u32 s61, s45, s48
	s_add_u32 s49, s57, s49
	s_mul_i32 s48, s45, s48
	s_addc_u32 s49, s58, s59
	s_addc_u32 s57, s61, 0
	s_add_u32 s48, s49, s48
	s_addc_u32 s49, 0, s57
	s_add_u32 s46, s46, s48
	s_cselect_b32 s48, -1, 0
	s_mul_hi_u32 s57, s0, s46
	s_cmp_lg_u32 s48, 0
	s_mul_i32 s48, s0, s46
	s_addc_u32 s45, s45, s49
	s_mul_i32 s47, s47, s46
	s_mul_i32 s0, s0, s45
	s_mul_hi_u32 s49, s46, s48
	s_add_i32 s0, s57, s0
	s_mul_hi_u32 s57, s45, s48
	s_add_i32 s0, s0, s47
	s_mul_i32 s47, s45, s48
	s_mul_i32 s59, s46, s0
	s_mul_hi_u32 s58, s46, s0
	s_add_u32 s49, s49, s59
	s_addc_u32 s58, 0, s58
	s_mul_hi_u32 s48, s45, s0
	s_add_u32 s47, s49, s47
	s_mul_i32 s0, s45, s0
	s_addc_u32 s47, s58, s57
	s_addc_u32 s48, s48, 0
	s_add_u32 s0, s47, s0
	s_addc_u32 s47, 0, s48
	s_add_u32 s0, s46, s0
	s_cselect_b32 s46, -1, 0
	v_xor_b32_e32 v11, v3, v9
	s_cmp_lg_u32 s46, 0
	v_mul_hi_u32 v12, v10, s0
	s_addc_u32 s45, s45, s47
	v_mad_u64_u32 v[3:4], null, v10, s45, 0
	v_mad_u64_u32 v[5:6], null, v11, s0, 0
	;; [unrolled: 1-line block ×3, first 2 shown]
	v_add_co_u32 v3, vcc_lo, v12, v3
	v_add_co_ci_u32_e64 v4, null, 0, v4, vcc_lo
	v_add_co_u32 v3, vcc_lo, v3, v5
	v_add_co_ci_u32_e32 v3, vcc_lo, v4, v6, vcc_lo
	v_add_co_ci_u32_e32 v4, vcc_lo, 0, v8, vcc_lo
	v_add_co_u32 v5, vcc_lo, v3, v7
	v_add_co_ci_u32_e64 v6, null, 0, v4, vcc_lo
	v_mul_lo_u32 v7, s3, v5
	v_mad_u64_u32 v[3:4], null, s2, v5, 0
	v_mul_lo_u32 v8, s2, v6
	v_sub_co_u32 v3, vcc_lo, v10, v3
	v_add3_u32 v4, v4, v8, v7
	v_add_co_u32 v8, s0, v5, 2
	v_add_co_ci_u32_e64 v10, null, 0, v6, s0
	v_sub_nc_u32_e32 v7, v11, v4
	v_sub_co_u32 v12, s0, v3, s2
	v_sub_co_ci_u32_e64 v4, null, v11, v4, vcc_lo
	v_subrev_co_ci_u32_e64 v7, null, s3, v7, vcc_lo
	v_cmp_le_u32_e32 vcc_lo, s2, v12
	v_subrev_co_ci_u32_e64 v7, null, 0, v7, s0
	v_cndmask_b32_e64 v11, 0, -1, vcc_lo
	v_cmp_le_u32_e32 vcc_lo, s3, v7
	v_cndmask_b32_e64 v12, 0, -1, vcc_lo
	v_cmp_le_u32_e32 vcc_lo, s2, v3
	;; [unrolled: 2-line block ×3, first 2 shown]
	v_cndmask_b32_e64 v13, 0, -1, vcc_lo
	v_cmp_eq_u32_e32 vcc_lo, s3, v7
	v_cndmask_b32_e32 v7, v12, v11, vcc_lo
	v_add_co_u32 v11, vcc_lo, v5, 1
	v_add_co_ci_u32_e64 v12, null, 0, v6, vcc_lo
	v_cmp_eq_u32_e32 vcc_lo, s3, v4
	v_cndmask_b32_e32 v3, v13, v3, vcc_lo
	v_cmp_ne_u32_e32 vcc_lo, 0, v7
	v_xor_b32_e32 v7, s44, v9
	v_cmp_ne_u32_e64 s0, 0, v3
	v_cndmask_b32_e32 v3, v11, v8, vcc_lo
	v_cndmask_b32_e32 v4, v12, v10, vcc_lo
	v_cndmask_b32_e64 v3, v5, v3, s0
	v_cndmask_b32_e64 v4, v6, v4, s0
	v_xor_b32_e32 v3, v3, v7
	v_xor_b32_e32 v5, v4, v7
	v_sub_co_u32 v4, vcc_lo, v3, v7
	v_sub_co_ci_u32_e64 v5, null, v5, v7, vcc_lo
.LBB4_5:                                ;   in Loop: Header=BB4_3 Depth=1
	s_andn2_saveexec_b32 s0, s1
	s_cbranch_execz .LBB4_7
; %bb.6:                                ;   in Loop: Header=BB4_3 Depth=1
	s_sub_i32 s1, 0, s26
	v_mul_lo_u32 v3, s1, v15
	v_mul_hi_u32 v3, v15, v3
	v_add_nc_u32_e32 v3, v15, v3
	v_mul_hi_u32 v3, v0, v3
	v_mul_lo_u32 v4, v3, s26
	v_add_nc_u32_e32 v5, 1, v3
	v_sub_nc_u32_e32 v4, v0, v4
	v_subrev_nc_u32_e32 v6, s26, v4
	v_cmp_le_u32_e32 vcc_lo, s26, v4
	v_cndmask_b32_e32 v4, v4, v6, vcc_lo
	v_cndmask_b32_e32 v3, v3, v5, vcc_lo
	v_cmp_le_u32_e32 vcc_lo, s26, v4
	v_add_nc_u32_e32 v5, 1, v3
	v_cndmask_b32_e32 v4, v3, v5, vcc_lo
	v_mov_b32_e32 v5, v2
.LBB4_7:                                ;   in Loop: Header=BB4_3 Depth=1
	s_or_b32 exec_lo, exec_lo, s0
	v_or_b32_e32 v3, s25, v5
                                        ; implicit-def: $vgpr6_vgpr7
	s_mov_b32 s0, exec_lo
	v_cmpx_ne_u64_e32 0, v[2:3]
	s_xor_b32 s1, exec_lo, s0
	s_cbranch_execnz .LBB4_10
; %bb.8:                                ;   in Loop: Header=BB4_3 Depth=1
	s_andn2_saveexec_b32 s0, s1
	s_cbranch_execnz .LBB4_11
.LBB4_9:                                ;   in Loop: Header=BB4_3 Depth=1
	s_or_b32 exec_lo, exec_lo, s0
	s_andn2_b32 vcc_lo, exec_lo, s33
	s_cbranch_vccz .LBB4_12
	s_branch .LBB4_2
.LBB4_10:                               ;   in Loop: Header=BB4_3 Depth=1
	s_ashr_i32 s2, s25, 31
	v_ashrrev_i32_e32 v12, 31, v5
	s_add_u32 s46, s24, s2
	s_mov_b32 s3, s2
	s_addc_u32 s47, s25, s2
	s_xor_b64 s[46:47], s[46:47], s[2:3]
	v_add_co_u32 v7, vcc_lo, v4, v12
	v_cvt_f32_u32_e32 v3, s46
	v_cvt_f32_u32_e32 v6, s47
	s_sub_u32 s45, 0, s46
	s_subb_u32 s48, 0, s47
	v_add_co_ci_u32_e64 v8, null, v5, v12, vcc_lo
	v_fmac_f32_e32 v3, 0x4f800000, v6
	v_xor_b32_e32 v13, v8, v12
	v_rcp_f32_e32 v3, v3
	v_mul_f32_e32 v3, 0x5f7ffffc, v3
	v_mul_f32_e32 v6, 0x2f800000, v3
	v_trunc_f32_e32 v6, v6
	v_fmac_f32_e32 v3, 0xcf800000, v6
	v_cvt_u32_f32_e32 v6, v6
	v_cvt_u32_f32_e32 v3, v3
	v_readfirstlane_b32 s0, v6
	v_readfirstlane_b32 s3, v3
	s_mul_i32 s49, s45, s0
	v_xor_b32_e32 v3, v7, v12
	s_mul_hi_u32 s58, s45, s3
	s_mul_i32 s57, s48, s3
	s_add_i32 s49, s58, s49
	s_mul_i32 s59, s45, s3
	s_add_i32 s49, s49, s57
	s_mul_hi_u32 s58, s3, s59
	s_mul_i32 s61, s3, s49
	s_mul_hi_u32 s60, s0, s59
	s_mul_i32 s57, s0, s59
	s_mul_hi_u32 s59, s3, s49
	s_add_u32 s58, s58, s61
	s_addc_u32 s59, 0, s59
	s_mul_hi_u32 s62, s0, s49
	s_add_u32 s57, s58, s57
	s_mul_i32 s49, s0, s49
	s_addc_u32 s57, s59, s60
	s_addc_u32 s58, s62, 0
	s_add_u32 s49, s57, s49
	s_addc_u32 s57, 0, s58
	s_add_u32 s3, s3, s49
	s_cselect_b32 s49, -1, 0
	s_mul_hi_u32 s58, s45, s3
	s_cmp_lg_u32 s49, 0
	s_mul_i32 s49, s45, s3
	s_addc_u32 s0, s0, s57
	s_mul_i32 s48, s48, s3
	s_mul_i32 s45, s45, s0
	s_mul_hi_u32 s57, s3, s49
	s_add_i32 s45, s58, s45
	s_mul_hi_u32 s58, s0, s49
	s_add_i32 s45, s45, s48
	s_mul_i32 s48, s0, s49
	s_mul_i32 s60, s3, s45
	s_mul_hi_u32 s59, s3, s45
	s_add_u32 s57, s57, s60
	s_addc_u32 s59, 0, s59
	s_mul_hi_u32 s49, s0, s45
	s_add_u32 s48, s57, s48
	s_mul_i32 s45, s0, s45
	s_addc_u32 s48, s59, s58
	s_addc_u32 s49, s49, 0
	s_add_u32 s45, s48, s45
	s_addc_u32 s48, 0, s49
	s_add_u32 s3, s3, s45
	s_cselect_b32 s45, -1, 0
	v_mul_hi_u32 v14, v3, s3
	s_cmp_lg_u32 s45, 0
	v_mad_u64_u32 v[8:9], null, v13, s3, 0
	s_addc_u32 s0, s0, s48
	v_mad_u64_u32 v[6:7], null, v3, s0, 0
	v_mad_u64_u32 v[10:11], null, v13, s0, 0
	v_add_co_u32 v6, vcc_lo, v14, v6
	v_add_co_ci_u32_e64 v7, null, 0, v7, vcc_lo
	v_add_co_u32 v6, vcc_lo, v6, v8
	v_add_co_ci_u32_e32 v6, vcc_lo, v7, v9, vcc_lo
	v_add_co_ci_u32_e32 v7, vcc_lo, 0, v11, vcc_lo
	v_add_co_u32 v8, vcc_lo, v6, v10
	v_add_co_ci_u32_e64 v9, null, 0, v7, vcc_lo
	v_mul_lo_u32 v10, s47, v8
	v_mad_u64_u32 v[6:7], null, s46, v8, 0
	v_mul_lo_u32 v11, s46, v9
	v_sub_co_u32 v3, vcc_lo, v3, v6
	v_add3_u32 v7, v7, v11, v10
	v_sub_nc_u32_e32 v10, v13, v7
	v_sub_co_ci_u32_e64 v7, null, v13, v7, vcc_lo
	v_subrev_co_ci_u32_e64 v6, null, s47, v10, vcc_lo
	v_add_co_u32 v10, s0, v8, 2
	v_add_co_ci_u32_e64 v11, null, 0, v9, s0
	v_sub_co_u32 v14, s0, v3, s46
	v_subrev_co_ci_u32_e64 v6, null, 0, v6, s0
	v_cmp_le_u32_e32 vcc_lo, s46, v14
	v_cndmask_b32_e64 v13, 0, -1, vcc_lo
	v_cmp_le_u32_e32 vcc_lo, s47, v6
	v_cndmask_b32_e64 v14, 0, -1, vcc_lo
	;; [unrolled: 2-line block ×4, first 2 shown]
	v_cmp_eq_u32_e32 vcc_lo, s47, v6
	v_cndmask_b32_e32 v6, v14, v13, vcc_lo
	v_add_co_u32 v13, vcc_lo, v8, 1
	v_add_co_ci_u32_e64 v14, null, 0, v9, vcc_lo
	v_cmp_eq_u32_e32 vcc_lo, s47, v7
	v_xor_b32_e32 v7, s2, v12
	v_cndmask_b32_e32 v3, v16, v3, vcc_lo
	v_cmp_ne_u32_e32 vcc_lo, 0, v6
	v_cmp_ne_u32_e64 s0, 0, v3
	v_cndmask_b32_e32 v3, v13, v10, vcc_lo
	v_cndmask_b32_e32 v6, v14, v11, vcc_lo
	v_cndmask_b32_e64 v3, v8, v3, s0
	v_cndmask_b32_e64 v6, v9, v6, s0
	v_xor_b32_e32 v3, v3, v7
	v_xor_b32_e32 v8, v6, v7
	v_sub_co_u32 v6, vcc_lo, v3, v7
	v_sub_co_ci_u32_e64 v7, null, v8, v7, vcc_lo
	s_andn2_saveexec_b32 s0, s1
	s_cbranch_execz .LBB4_9
.LBB4_11:                               ;   in Loop: Header=BB4_3 Depth=1
	v_cvt_f32_u32_e32 v3, s24
	s_sub_i32 s1, 0, s24
	v_rcp_iflag_f32_e32 v3, v3
	v_mul_f32_e32 v3, 0x4f7ffffe, v3
	v_cvt_u32_f32_e32 v3, v3
	v_mul_lo_u32 v6, s1, v3
	v_mul_hi_u32 v6, v3, v6
	v_add_nc_u32_e32 v3, v3, v6
	v_mul_hi_u32 v3, v4, v3
	v_mul_lo_u32 v6, v3, s24
	v_add_nc_u32_e32 v7, 1, v3
	v_sub_nc_u32_e32 v6, v4, v6
	v_subrev_nc_u32_e32 v8, s24, v6
	v_cmp_le_u32_e32 vcc_lo, s24, v6
	v_cndmask_b32_e32 v6, v6, v8, vcc_lo
	v_cndmask_b32_e32 v3, v3, v7, vcc_lo
	v_cmp_le_u32_e32 vcc_lo, s24, v6
	v_add_nc_u32_e32 v7, 1, v3
	v_cndmask_b32_e32 v6, v3, v7, vcc_lo
	v_mov_b32_e32 v7, v2
	s_or_b32 exec_lo, exec_lo, s0
	s_andn2_b32 vcc_lo, exec_lo, s33
	s_cbranch_vccnz .LBB4_2
.LBB4_12:                               ;   in Loop: Header=BB4_3 Depth=1
	v_mul_lo_u32 v3, v7, s24
	v_mul_lo_u32 v12, v6, s25
	v_mad_u64_u32 v[8:9], null, v6, s24, 0
	v_mul_lo_u32 v13, v5, s26
	v_mul_lo_u32 v14, v4, s27
	v_mad_u64_u32 v[10:11], null, v4, s26, 0
	v_mul_lo_u32 v16, s53, v7
	v_mul_lo_u32 v7, v7, s12
	v_add3_u32 v9, v9, v12, v3
	v_sub_co_u32 v3, vcc_lo, v4, v8
	s_mov_b64 s[46:47], 0
	v_sub_co_ci_u32_e64 v4, null, v5, v9, vcc_lo
	v_add3_u32 v5, v11, v14, v13
	v_mul_lo_u32 v14, v3, s37
	v_mad_u64_u32 v[8:9], null, v3, s36, 0
	v_mul_lo_u32 v17, v4, s36
	v_sub_co_u32 v10, vcc_lo, v0, v10
	v_sub_co_ci_u32_e64 v11, null, v1, v5, vcc_lo
	v_mul_lo_u32 v5, s54, v6
	v_mad_u64_u32 v[12:13], null, s53, v6, v[3:4]
	v_add3_u32 v4, v9, v14, v17
	v_sub_co_u32 v3, vcc_lo, v8, s20
	v_mul_lo_u32 v23, s6, v11
	v_mad_u64_u32 v[18:19], null, s6, v10, 0
	v_add3_u32 v5, v5, v13, v16
	v_subrev_co_ci_u32_e64 v4, null, s21, v4, vcc_lo
	v_mul_lo_u32 v22, v12, s27
	v_mad_u64_u32 v[16:17], null, v12, s26, 0
	v_mul_lo_u32 v5, v5, s26
	v_mad_u64_u32 v[13:14], null, v6, s12, v[3:4]
	v_mul_lo_u32 v12, s7, v10
	v_mul_lo_u32 v6, v6, s13
	;; [unrolled: 1-line block ×4, first 2 shown]
	v_mad_u64_u32 v[8:9], null, v10, s38, 0
	v_add3_u32 v17, v17, v22, v5
	v_add3_u32 v19, v19, v23, v12
	v_add3_u32 v5, v7, v14, v6
	v_mul_lo_u32 v12, s5, v13
	v_lshlrev_b64 v[16:17], 1, v[16:17]
	v_add3_u32 v9, v9, v21, v20
	v_mad_u64_u32 v[18:19], null, s4, v13, v[18:19]
	v_mul_lo_u32 v13, s4, v5
	v_sub_co_u32 v5, vcc_lo, v8, s22
	v_lshlrev_b64 v[7:8], 1, v[10:11]
	v_subrev_co_ci_u32_e64 v6, null, s23, v9, vcc_lo
	v_add_co_u32 v9, vcc_lo, s28, v16
	v_add_co_ci_u32_e64 v10, null, s29, v17, vcc_lo
	v_add3_u32 v11, v12, v19, v13
	v_add_co_u32 v7, vcc_lo, v9, v7
	v_add_co_ci_u32_e64 v8, null, v10, v8, vcc_lo
	v_add_co_u32 v9, vcc_lo, s55, v18
	v_add_co_ci_u32_e64 v10, null, s56, v11, vcc_lo
	s_branch .LBB4_14
.LBB4_13:                               ;   in Loop: Header=BB4_14 Depth=2
	s_inst_prefetch 0x2
	v_add_co_u32 v9, vcc_lo, v9, s10
	s_add_u32 s46, s46, 1
	v_add_co_ci_u32_e64 v10, null, s11, v10, vcc_lo
	s_addc_u32 s47, s47, 0
	s_cmp_eq_u64 s[46:47], s[16:17]
	s_cbranch_scc1 .LBB4_2
.LBB4_14:                               ;   Parent Loop BB4_3 Depth=1
                                        ; =>  This Loop Header: Depth=2
                                        ;       Child Loop BB4_17 Depth 3
	s_andn2_b32 vcc_lo, exec_lo, s50
	s_cbranch_vccnz .LBB4_13
; %bb.15:                               ;   in Loop: Header=BB4_14 Depth=2
	v_mad_u64_u32 v[11:12], null, s46, s40, v[3:4]
	s_mul_i32 s0, s47, s40
	s_mul_i32 s1, s46, s41
	v_mov_b32_e32 v14, v10
	v_mov_b32_e32 v13, v9
	s_mov_b64 s[48:49], s[18:19]
	v_add3_u32 v12, s1, s0, v12
	v_cmp_lt_i64_e32 vcc_lo, -1, v[11:12]
	v_cmp_gt_i64_e64 s0, s[12:13], v[11:12]
	v_mov_b32_e32 v12, v6
	v_mov_b32_e32 v11, v5
	s_inst_prefetch 0x1
	s_branch .LBB4_17
	.p2align	6
.LBB4_16:                               ;   in Loop: Header=BB4_17 Depth=3
	s_or_b32 exec_lo, exec_lo, s1
	v_add_co_u32 v13, s1, v13, s30
	v_add_co_ci_u32_e64 v14, null, s31, v14, s1
	v_add_co_u32 v11, s1, v11, s42
	s_waitcnt vmcnt(0)
	global_store_short v[7:8], v16, off
	v_add_co_ci_u32_e64 v12, null, s43, v12, s1
	v_add_co_u32 v7, s1, v7, s34
	s_add_u32 s48, s48, -1
	v_add_co_ci_u32_e64 v8, null, s35, v8, s1
	s_addc_u32 s49, s49, -1
	s_cmp_eq_u64 s[48:49], 0
	s_cbranch_scc1 .LBB4_13
.LBB4_17:                               ;   Parent Loop BB4_3 Depth=1
                                        ;     Parent Loop BB4_14 Depth=2
                                        ; =>    This Inner Loop Header: Depth=3
	v_cmp_lt_i64_e64 s1, -1, v[11:12]
	v_cmp_gt_i64_e64 s2, s[14:15], v[11:12]
	v_mov_b32_e32 v16, 0
	s_and_b32 s1, vcc_lo, s1
	s_and_b32 s1, s0, s1
	s_and_b32 s2, s1, s2
	s_and_saveexec_b32 s1, s2
	s_cbranch_execz .LBB4_16
; %bb.18:                               ;   in Loop: Header=BB4_17 Depth=3
	global_load_ushort v16, v[13:14], off
	s_branch .LBB4_16
.LBB4_19:
	s_endpgm
	.section	.rodata,"a",@progbits
	.p2align	6, 0x0
	.amdhsa_kernel _ZN2at6native13im2col_kernelIN3c104HalfEEEvlPKT_llllllllllllPS4_
		.amdhsa_group_segment_fixed_size 0
		.amdhsa_private_segment_fixed_size 0
		.amdhsa_kernarg_size 376
		.amdhsa_user_sgpr_count 6
		.amdhsa_user_sgpr_private_segment_buffer 1
		.amdhsa_user_sgpr_dispatch_ptr 0
		.amdhsa_user_sgpr_queue_ptr 0
		.amdhsa_user_sgpr_kernarg_segment_ptr 1
		.amdhsa_user_sgpr_dispatch_id 0
		.amdhsa_user_sgpr_flat_scratch_init 0
		.amdhsa_user_sgpr_private_segment_size 0
		.amdhsa_wavefront_size32 1
		.amdhsa_uses_dynamic_stack 0
		.amdhsa_system_sgpr_private_segment_wavefront_offset 0
		.amdhsa_system_sgpr_workgroup_id_x 1
		.amdhsa_system_sgpr_workgroup_id_y 0
		.amdhsa_system_sgpr_workgroup_id_z 0
		.amdhsa_system_sgpr_workgroup_info 0
		.amdhsa_system_vgpr_workitem_id 0
		.amdhsa_next_free_vgpr 24
		.amdhsa_next_free_sgpr 63
		.amdhsa_reserve_vcc 1
		.amdhsa_reserve_flat_scratch 0
		.amdhsa_float_round_mode_32 0
		.amdhsa_float_round_mode_16_64 0
		.amdhsa_float_denorm_mode_32 3
		.amdhsa_float_denorm_mode_16_64 3
		.amdhsa_dx10_clamp 1
		.amdhsa_ieee_mode 1
		.amdhsa_fp16_overflow 0
		.amdhsa_workgroup_processor_mode 1
		.amdhsa_memory_ordered 1
		.amdhsa_forward_progress 1
		.amdhsa_shared_vgpr_count 0
		.amdhsa_exception_fp_ieee_invalid_op 0
		.amdhsa_exception_fp_denorm_src 0
		.amdhsa_exception_fp_ieee_div_zero 0
		.amdhsa_exception_fp_ieee_overflow 0
		.amdhsa_exception_fp_ieee_underflow 0
		.amdhsa_exception_fp_ieee_inexact 0
		.amdhsa_exception_int_div_zero 0
	.end_amdhsa_kernel
	.section	.text._ZN2at6native13im2col_kernelIN3c104HalfEEEvlPKT_llllllllllllPS4_,"axG",@progbits,_ZN2at6native13im2col_kernelIN3c104HalfEEEvlPKT_llllllllllllPS4_,comdat
.Lfunc_end4:
	.size	_ZN2at6native13im2col_kernelIN3c104HalfEEEvlPKT_llllllllllllPS4_, .Lfunc_end4-_ZN2at6native13im2col_kernelIN3c104HalfEEEvlPKT_llllllllllllPS4_
                                        ; -- End function
	.set _ZN2at6native13im2col_kernelIN3c104HalfEEEvlPKT_llllllllllllPS4_.num_vgpr, 24
	.set _ZN2at6native13im2col_kernelIN3c104HalfEEEvlPKT_llllllllllllPS4_.num_agpr, 0
	.set _ZN2at6native13im2col_kernelIN3c104HalfEEEvlPKT_llllllllllllPS4_.numbered_sgpr, 63
	.set _ZN2at6native13im2col_kernelIN3c104HalfEEEvlPKT_llllllllllllPS4_.num_named_barrier, 0
	.set _ZN2at6native13im2col_kernelIN3c104HalfEEEvlPKT_llllllllllllPS4_.private_seg_size, 0
	.set _ZN2at6native13im2col_kernelIN3c104HalfEEEvlPKT_llllllllllllPS4_.uses_vcc, 1
	.set _ZN2at6native13im2col_kernelIN3c104HalfEEEvlPKT_llllllllllllPS4_.uses_flat_scratch, 0
	.set _ZN2at6native13im2col_kernelIN3c104HalfEEEvlPKT_llllllllllllPS4_.has_dyn_sized_stack, 0
	.set _ZN2at6native13im2col_kernelIN3c104HalfEEEvlPKT_llllllllllllPS4_.has_recursion, 0
	.set _ZN2at6native13im2col_kernelIN3c104HalfEEEvlPKT_llllllllllllPS4_.has_indirect_call, 0
	.section	.AMDGPU.csdata,"",@progbits
; Kernel info:
; codeLenInByte = 2568
; TotalNumSgprs: 65
; NumVgprs: 24
; ScratchSize: 0
; MemoryBound: 0
; FloatMode: 240
; IeeeMode: 1
; LDSByteSize: 0 bytes/workgroup (compile time only)
; SGPRBlocks: 0
; VGPRBlocks: 2
; NumSGPRsForWavesPerEU: 65
; NumVGPRsForWavesPerEU: 24
; Occupancy: 16
; WaveLimiterHint : 0
; COMPUTE_PGM_RSRC2:SCRATCH_EN: 0
; COMPUTE_PGM_RSRC2:USER_SGPR: 6
; COMPUTE_PGM_RSRC2:TRAP_HANDLER: 0
; COMPUTE_PGM_RSRC2:TGID_X_EN: 1
; COMPUTE_PGM_RSRC2:TGID_Y_EN: 0
; COMPUTE_PGM_RSRC2:TGID_Z_EN: 0
; COMPUTE_PGM_RSRC2:TIDIG_COMP_CNT: 0
	.section	.text._ZN2at6native13im2col_kernelIN3c108BFloat16EEEvlPKT_llllllllllllPS4_,"axG",@progbits,_ZN2at6native13im2col_kernelIN3c108BFloat16EEEvlPKT_llllllllllllPS4_,comdat
	.protected	_ZN2at6native13im2col_kernelIN3c108BFloat16EEEvlPKT_llllllllllllPS4_ ; -- Begin function _ZN2at6native13im2col_kernelIN3c108BFloat16EEEvlPKT_llllllllllllPS4_
	.globl	_ZN2at6native13im2col_kernelIN3c108BFloat16EEEvlPKT_llllllllllllPS4_
	.p2align	8
	.type	_ZN2at6native13im2col_kernelIN3c108BFloat16EEEvlPKT_llllllllllllPS4_,@function
_ZN2at6native13im2col_kernelIN3c108BFloat16EEEvlPKT_llllllllllllPS4_: ; @_ZN2at6native13im2col_kernelIN3c108BFloat16EEEvlPKT_llllllllllllPS4_
; %bb.0:
	s_clause 0x1
	s_load_dword s2, s[4:5], 0x84
	s_load_dwordx16 s[8:23], s[4:5], 0x0
	v_mov_b32_e32 v2, 0
	s_add_u32 s0, s4, 0x78
	s_addc_u32 s1, s5, 0
	s_mov_b32 s3, exec_lo
	v_mov_b32_e32 v1, v2
	s_waitcnt lgkmcnt(0)
	s_and_b32 s2, s2, 0xffff
	v_mad_u64_u32 v[0:1], null, s2, s6, v[0:1]
	v_cmpx_gt_i64_e64 s[8:9], v[0:1]
	s_cbranch_execz .LBB5_19
; %bb.1:
	s_load_dwordx8 s[24:31], s[4:5], 0x60
	s_load_dword s3, s[0:1], 0x0
	s_load_dwordx8 s[36:43], s[4:5], 0x40
	s_lshl_b64 s[0:1], s[22:23], 1
	v_cmp_gt_i64_e64 s33, s[16:17], 0
	v_cmp_gt_i64_e64 s50, s[18:19], 0
	s_mov_b32 s51, 0
	s_waitcnt lgkmcnt(0)
	v_cvt_f32_u32_e32 v3, s26
	s_mul_i32 s4, s18, s25
	s_mul_hi_u32 s5, s18, s24
	s_mul_i32 s6, s19, s24
	s_mul_i32 s7, s18, s24
	v_rcp_iflag_f32_e32 v3, v3
	s_add_i32 s4, s5, s4
	s_mul_i32 s5, s7, s17
	s_mul_hi_u32 s35, s7, s16
	s_add_i32 s4, s4, s6
	s_add_i32 s5, s35, s5
	s_mul_i32 s4, s4, s16
	s_mul_i32 s52, s3, s2
	s_add_i32 s54, s5, s4
	s_sub_u32 s0, 0, s0
	s_mul_i32 s2, s40, s15
	s_mul_hi_u32 s3, s40, s14
	s_subb_u32 s1, 0, s1
	v_mul_f32_e32 v3, 0x4f7ffffe, v3
	s_add_u32 s55, s10, s0
	s_mul_i32 s30, s41, s14
	s_mul_i32 s31, s26, s25
	s_mul_hi_u32 s34, s26, s24
	s_addc_u32 s56, s11, s1
	s_add_i32 s0, s3, s2
	s_add_i32 s2, s34, s31
	;; [unrolled: 1-line block ×3, first 2 shown]
	s_mul_i32 s0, s40, s14
	s_mul_i32 s3, s27, s24
	v_cvt_u32_f32_e32 v15, v3
	s_lshl_b64 s[10:11], s[0:1], 1
	s_add_i32 s1, s2, s3
	s_mul_i32 s0, s26, s24
	s_mul_i32 s53, s7, s16
	s_lshl_b64 s[4:5], s[14:15], 1
	s_lshl_b64 s[6:7], s[38:39], 1
	;; [unrolled: 1-line block ×4, first 2 shown]
	s_ashr_i32 s44, s27, 31
	s_branch .LBB5_3
.LBB5_2:                                ;   in Loop: Header=BB5_3 Depth=1
	v_add_co_u32 v0, vcc_lo, v0, s52
	v_add_co_ci_u32_e64 v1, null, 0, v1, vcc_lo
	v_cmp_le_i64_e32 vcc_lo, s[8:9], v[0:1]
	s_or_b32 s51, vcc_lo, s51
	s_andn2_b32 exec_lo, exec_lo, s51
	s_cbranch_execz .LBB5_19
.LBB5_3:                                ; =>This Loop Header: Depth=1
                                        ;     Child Loop BB5_14 Depth 2
                                        ;       Child Loop BB5_17 Depth 3
	v_or_b32_e32 v3, s27, v1
                                        ; implicit-def: $vgpr4_vgpr5
	s_mov_b32 s0, exec_lo
	v_cmpx_ne_u64_e32 0, v[2:3]
	s_xor_b32 s1, exec_lo, s0
	s_cbranch_execz .LBB5_5
; %bb.4:                                ;   in Loop: Header=BB5_3 Depth=1
	s_add_u32 s2, s26, s44
	s_mov_b32 s45, s44
	s_addc_u32 s3, s27, s44
	v_ashrrev_i32_e32 v9, 31, v1
	s_xor_b64 s[2:3], s[2:3], s[44:45]
	v_cvt_f32_u32_e32 v3, s2
	v_cvt_f32_u32_e32 v4, s3
	s_sub_u32 s0, 0, s2
	s_subb_u32 s47, 0, s3
	v_add_co_u32 v5, vcc_lo, v0, v9
	v_fmac_f32_e32 v3, 0x4f800000, v4
	v_xor_b32_e32 v10, v5, v9
	v_rcp_f32_e32 v3, v3
	v_mul_f32_e32 v3, 0x5f7ffffc, v3
	v_mul_f32_e32 v4, 0x2f800000, v3
	v_trunc_f32_e32 v4, v4
	v_fmac_f32_e32 v3, 0xcf800000, v4
	v_cvt_u32_f32_e32 v4, v4
	v_cvt_u32_f32_e32 v3, v3
	v_readfirstlane_b32 s45, v4
	v_readfirstlane_b32 s46, v3
	s_mul_i32 s48, s0, s45
	v_add_co_ci_u32_e64 v3, null, v1, v9, vcc_lo
	s_mul_hi_u32 s57, s0, s46
	s_mul_i32 s49, s47, s46
	s_add_i32 s48, s57, s48
	s_mul_i32 s58, s0, s46
	s_add_i32 s48, s48, s49
	s_mul_hi_u32 s57, s46, s58
	s_mul_i32 s60, s46, s48
	s_mul_hi_u32 s59, s45, s58
	s_mul_i32 s49, s45, s58
	s_mul_hi_u32 s58, s46, s48
	s_add_u32 s57, s57, s60
	s_addc_u32 s58, 0, s58
	s_mul_hi_u32 s61, s45, s48
	s_add_u32 s49, s57, s49
	s_mul_i32 s48, s45, s48
	s_addc_u32 s49, s58, s59
	s_addc_u32 s57, s61, 0
	s_add_u32 s48, s49, s48
	s_addc_u32 s49, 0, s57
	s_add_u32 s46, s46, s48
	s_cselect_b32 s48, -1, 0
	s_mul_hi_u32 s57, s0, s46
	s_cmp_lg_u32 s48, 0
	s_mul_i32 s48, s0, s46
	s_addc_u32 s45, s45, s49
	s_mul_i32 s47, s47, s46
	s_mul_i32 s0, s0, s45
	s_mul_hi_u32 s49, s46, s48
	s_add_i32 s0, s57, s0
	s_mul_hi_u32 s57, s45, s48
	s_add_i32 s0, s0, s47
	s_mul_i32 s47, s45, s48
	s_mul_i32 s59, s46, s0
	s_mul_hi_u32 s58, s46, s0
	s_add_u32 s49, s49, s59
	s_addc_u32 s58, 0, s58
	s_mul_hi_u32 s48, s45, s0
	s_add_u32 s47, s49, s47
	s_mul_i32 s0, s45, s0
	s_addc_u32 s47, s58, s57
	s_addc_u32 s48, s48, 0
	s_add_u32 s0, s47, s0
	s_addc_u32 s47, 0, s48
	s_add_u32 s0, s46, s0
	s_cselect_b32 s46, -1, 0
	v_xor_b32_e32 v11, v3, v9
	s_cmp_lg_u32 s46, 0
	v_mul_hi_u32 v12, v10, s0
	s_addc_u32 s45, s45, s47
	v_mad_u64_u32 v[3:4], null, v10, s45, 0
	v_mad_u64_u32 v[5:6], null, v11, s0, 0
	;; [unrolled: 1-line block ×3, first 2 shown]
	v_add_co_u32 v3, vcc_lo, v12, v3
	v_add_co_ci_u32_e64 v4, null, 0, v4, vcc_lo
	v_add_co_u32 v3, vcc_lo, v3, v5
	v_add_co_ci_u32_e32 v3, vcc_lo, v4, v6, vcc_lo
	v_add_co_ci_u32_e32 v4, vcc_lo, 0, v8, vcc_lo
	v_add_co_u32 v5, vcc_lo, v3, v7
	v_add_co_ci_u32_e64 v6, null, 0, v4, vcc_lo
	v_mul_lo_u32 v7, s3, v5
	v_mad_u64_u32 v[3:4], null, s2, v5, 0
	v_mul_lo_u32 v8, s2, v6
	v_sub_co_u32 v3, vcc_lo, v10, v3
	v_add3_u32 v4, v4, v8, v7
	v_add_co_u32 v8, s0, v5, 2
	v_add_co_ci_u32_e64 v10, null, 0, v6, s0
	v_sub_nc_u32_e32 v7, v11, v4
	v_sub_co_u32 v12, s0, v3, s2
	v_sub_co_ci_u32_e64 v4, null, v11, v4, vcc_lo
	v_subrev_co_ci_u32_e64 v7, null, s3, v7, vcc_lo
	v_cmp_le_u32_e32 vcc_lo, s2, v12
	v_subrev_co_ci_u32_e64 v7, null, 0, v7, s0
	v_cndmask_b32_e64 v11, 0, -1, vcc_lo
	v_cmp_le_u32_e32 vcc_lo, s3, v7
	v_cndmask_b32_e64 v12, 0, -1, vcc_lo
	v_cmp_le_u32_e32 vcc_lo, s2, v3
	;; [unrolled: 2-line block ×3, first 2 shown]
	v_cndmask_b32_e64 v13, 0, -1, vcc_lo
	v_cmp_eq_u32_e32 vcc_lo, s3, v7
	v_cndmask_b32_e32 v7, v12, v11, vcc_lo
	v_add_co_u32 v11, vcc_lo, v5, 1
	v_add_co_ci_u32_e64 v12, null, 0, v6, vcc_lo
	v_cmp_eq_u32_e32 vcc_lo, s3, v4
	v_cndmask_b32_e32 v3, v13, v3, vcc_lo
	v_cmp_ne_u32_e32 vcc_lo, 0, v7
	v_xor_b32_e32 v7, s44, v9
	v_cmp_ne_u32_e64 s0, 0, v3
	v_cndmask_b32_e32 v3, v11, v8, vcc_lo
	v_cndmask_b32_e32 v4, v12, v10, vcc_lo
	v_cndmask_b32_e64 v3, v5, v3, s0
	v_cndmask_b32_e64 v4, v6, v4, s0
	v_xor_b32_e32 v3, v3, v7
	v_xor_b32_e32 v5, v4, v7
	v_sub_co_u32 v4, vcc_lo, v3, v7
	v_sub_co_ci_u32_e64 v5, null, v5, v7, vcc_lo
.LBB5_5:                                ;   in Loop: Header=BB5_3 Depth=1
	s_andn2_saveexec_b32 s0, s1
	s_cbranch_execz .LBB5_7
; %bb.6:                                ;   in Loop: Header=BB5_3 Depth=1
	s_sub_i32 s1, 0, s26
	v_mul_lo_u32 v3, s1, v15
	v_mul_hi_u32 v3, v15, v3
	v_add_nc_u32_e32 v3, v15, v3
	v_mul_hi_u32 v3, v0, v3
	v_mul_lo_u32 v4, v3, s26
	v_add_nc_u32_e32 v5, 1, v3
	v_sub_nc_u32_e32 v4, v0, v4
	v_subrev_nc_u32_e32 v6, s26, v4
	v_cmp_le_u32_e32 vcc_lo, s26, v4
	v_cndmask_b32_e32 v4, v4, v6, vcc_lo
	v_cndmask_b32_e32 v3, v3, v5, vcc_lo
	v_cmp_le_u32_e32 vcc_lo, s26, v4
	v_add_nc_u32_e32 v5, 1, v3
	v_cndmask_b32_e32 v4, v3, v5, vcc_lo
	v_mov_b32_e32 v5, v2
.LBB5_7:                                ;   in Loop: Header=BB5_3 Depth=1
	s_or_b32 exec_lo, exec_lo, s0
	v_or_b32_e32 v3, s25, v5
                                        ; implicit-def: $vgpr6_vgpr7
	s_mov_b32 s0, exec_lo
	v_cmpx_ne_u64_e32 0, v[2:3]
	s_xor_b32 s1, exec_lo, s0
	s_cbranch_execnz .LBB5_10
; %bb.8:                                ;   in Loop: Header=BB5_3 Depth=1
	s_andn2_saveexec_b32 s0, s1
	s_cbranch_execnz .LBB5_11
.LBB5_9:                                ;   in Loop: Header=BB5_3 Depth=1
	s_or_b32 exec_lo, exec_lo, s0
	s_andn2_b32 vcc_lo, exec_lo, s33
	s_cbranch_vccz .LBB5_12
	s_branch .LBB5_2
.LBB5_10:                               ;   in Loop: Header=BB5_3 Depth=1
	s_ashr_i32 s2, s25, 31
	v_ashrrev_i32_e32 v12, 31, v5
	s_add_u32 s46, s24, s2
	s_mov_b32 s3, s2
	s_addc_u32 s47, s25, s2
	s_xor_b64 s[46:47], s[46:47], s[2:3]
	v_add_co_u32 v7, vcc_lo, v4, v12
	v_cvt_f32_u32_e32 v3, s46
	v_cvt_f32_u32_e32 v6, s47
	s_sub_u32 s45, 0, s46
	s_subb_u32 s48, 0, s47
	v_add_co_ci_u32_e64 v8, null, v5, v12, vcc_lo
	v_fmac_f32_e32 v3, 0x4f800000, v6
	v_xor_b32_e32 v13, v8, v12
	v_rcp_f32_e32 v3, v3
	v_mul_f32_e32 v3, 0x5f7ffffc, v3
	v_mul_f32_e32 v6, 0x2f800000, v3
	v_trunc_f32_e32 v6, v6
	v_fmac_f32_e32 v3, 0xcf800000, v6
	v_cvt_u32_f32_e32 v6, v6
	v_cvt_u32_f32_e32 v3, v3
	v_readfirstlane_b32 s0, v6
	v_readfirstlane_b32 s3, v3
	s_mul_i32 s49, s45, s0
	v_xor_b32_e32 v3, v7, v12
	s_mul_hi_u32 s58, s45, s3
	s_mul_i32 s57, s48, s3
	s_add_i32 s49, s58, s49
	s_mul_i32 s59, s45, s3
	s_add_i32 s49, s49, s57
	s_mul_hi_u32 s58, s3, s59
	s_mul_i32 s61, s3, s49
	s_mul_hi_u32 s60, s0, s59
	s_mul_i32 s57, s0, s59
	s_mul_hi_u32 s59, s3, s49
	s_add_u32 s58, s58, s61
	s_addc_u32 s59, 0, s59
	s_mul_hi_u32 s62, s0, s49
	s_add_u32 s57, s58, s57
	s_mul_i32 s49, s0, s49
	s_addc_u32 s57, s59, s60
	s_addc_u32 s58, s62, 0
	s_add_u32 s49, s57, s49
	s_addc_u32 s57, 0, s58
	s_add_u32 s3, s3, s49
	s_cselect_b32 s49, -1, 0
	s_mul_hi_u32 s58, s45, s3
	s_cmp_lg_u32 s49, 0
	s_mul_i32 s49, s45, s3
	s_addc_u32 s0, s0, s57
	s_mul_i32 s48, s48, s3
	s_mul_i32 s45, s45, s0
	s_mul_hi_u32 s57, s3, s49
	s_add_i32 s45, s58, s45
	s_mul_hi_u32 s58, s0, s49
	s_add_i32 s45, s45, s48
	s_mul_i32 s48, s0, s49
	s_mul_i32 s60, s3, s45
	s_mul_hi_u32 s59, s3, s45
	s_add_u32 s57, s57, s60
	s_addc_u32 s59, 0, s59
	s_mul_hi_u32 s49, s0, s45
	s_add_u32 s48, s57, s48
	s_mul_i32 s45, s0, s45
	s_addc_u32 s48, s59, s58
	s_addc_u32 s49, s49, 0
	s_add_u32 s45, s48, s45
	s_addc_u32 s48, 0, s49
	s_add_u32 s3, s3, s45
	s_cselect_b32 s45, -1, 0
	v_mul_hi_u32 v14, v3, s3
	s_cmp_lg_u32 s45, 0
	v_mad_u64_u32 v[8:9], null, v13, s3, 0
	s_addc_u32 s0, s0, s48
	v_mad_u64_u32 v[6:7], null, v3, s0, 0
	v_mad_u64_u32 v[10:11], null, v13, s0, 0
	v_add_co_u32 v6, vcc_lo, v14, v6
	v_add_co_ci_u32_e64 v7, null, 0, v7, vcc_lo
	v_add_co_u32 v6, vcc_lo, v6, v8
	v_add_co_ci_u32_e32 v6, vcc_lo, v7, v9, vcc_lo
	v_add_co_ci_u32_e32 v7, vcc_lo, 0, v11, vcc_lo
	v_add_co_u32 v8, vcc_lo, v6, v10
	v_add_co_ci_u32_e64 v9, null, 0, v7, vcc_lo
	v_mul_lo_u32 v10, s47, v8
	v_mad_u64_u32 v[6:7], null, s46, v8, 0
	v_mul_lo_u32 v11, s46, v9
	v_sub_co_u32 v3, vcc_lo, v3, v6
	v_add3_u32 v7, v7, v11, v10
	v_sub_nc_u32_e32 v10, v13, v7
	v_sub_co_ci_u32_e64 v7, null, v13, v7, vcc_lo
	v_subrev_co_ci_u32_e64 v6, null, s47, v10, vcc_lo
	v_add_co_u32 v10, s0, v8, 2
	v_add_co_ci_u32_e64 v11, null, 0, v9, s0
	v_sub_co_u32 v14, s0, v3, s46
	v_subrev_co_ci_u32_e64 v6, null, 0, v6, s0
	v_cmp_le_u32_e32 vcc_lo, s46, v14
	v_cndmask_b32_e64 v13, 0, -1, vcc_lo
	v_cmp_le_u32_e32 vcc_lo, s47, v6
	v_cndmask_b32_e64 v14, 0, -1, vcc_lo
	;; [unrolled: 2-line block ×4, first 2 shown]
	v_cmp_eq_u32_e32 vcc_lo, s47, v6
	v_cndmask_b32_e32 v6, v14, v13, vcc_lo
	v_add_co_u32 v13, vcc_lo, v8, 1
	v_add_co_ci_u32_e64 v14, null, 0, v9, vcc_lo
	v_cmp_eq_u32_e32 vcc_lo, s47, v7
	v_xor_b32_e32 v7, s2, v12
	v_cndmask_b32_e32 v3, v16, v3, vcc_lo
	v_cmp_ne_u32_e32 vcc_lo, 0, v6
	v_cmp_ne_u32_e64 s0, 0, v3
	v_cndmask_b32_e32 v3, v13, v10, vcc_lo
	v_cndmask_b32_e32 v6, v14, v11, vcc_lo
	v_cndmask_b32_e64 v3, v8, v3, s0
	v_cndmask_b32_e64 v6, v9, v6, s0
	v_xor_b32_e32 v3, v3, v7
	v_xor_b32_e32 v8, v6, v7
	v_sub_co_u32 v6, vcc_lo, v3, v7
	v_sub_co_ci_u32_e64 v7, null, v8, v7, vcc_lo
	s_andn2_saveexec_b32 s0, s1
	s_cbranch_execz .LBB5_9
.LBB5_11:                               ;   in Loop: Header=BB5_3 Depth=1
	v_cvt_f32_u32_e32 v3, s24
	s_sub_i32 s1, 0, s24
	v_rcp_iflag_f32_e32 v3, v3
	v_mul_f32_e32 v3, 0x4f7ffffe, v3
	v_cvt_u32_f32_e32 v3, v3
	v_mul_lo_u32 v6, s1, v3
	v_mul_hi_u32 v6, v3, v6
	v_add_nc_u32_e32 v3, v3, v6
	v_mul_hi_u32 v3, v4, v3
	v_mul_lo_u32 v6, v3, s24
	v_add_nc_u32_e32 v7, 1, v3
	v_sub_nc_u32_e32 v6, v4, v6
	v_subrev_nc_u32_e32 v8, s24, v6
	v_cmp_le_u32_e32 vcc_lo, s24, v6
	v_cndmask_b32_e32 v6, v6, v8, vcc_lo
	v_cndmask_b32_e32 v3, v3, v7, vcc_lo
	v_cmp_le_u32_e32 vcc_lo, s24, v6
	v_add_nc_u32_e32 v7, 1, v3
	v_cndmask_b32_e32 v6, v3, v7, vcc_lo
	v_mov_b32_e32 v7, v2
	s_or_b32 exec_lo, exec_lo, s0
	s_andn2_b32 vcc_lo, exec_lo, s33
	s_cbranch_vccnz .LBB5_2
.LBB5_12:                               ;   in Loop: Header=BB5_3 Depth=1
	v_mul_lo_u32 v3, v7, s24
	v_mul_lo_u32 v12, v6, s25
	v_mad_u64_u32 v[8:9], null, v6, s24, 0
	v_mul_lo_u32 v13, v5, s26
	v_mul_lo_u32 v14, v4, s27
	v_mad_u64_u32 v[10:11], null, v4, s26, 0
	v_mul_lo_u32 v16, s53, v7
	v_mul_lo_u32 v7, v7, s12
	v_add3_u32 v9, v9, v12, v3
	v_sub_co_u32 v3, vcc_lo, v4, v8
	s_mov_b64 s[46:47], 0
	v_sub_co_ci_u32_e64 v4, null, v5, v9, vcc_lo
	v_add3_u32 v5, v11, v14, v13
	v_mul_lo_u32 v14, v3, s37
	v_mad_u64_u32 v[8:9], null, v3, s36, 0
	v_mul_lo_u32 v17, v4, s36
	v_sub_co_u32 v10, vcc_lo, v0, v10
	v_sub_co_ci_u32_e64 v11, null, v1, v5, vcc_lo
	v_mul_lo_u32 v5, s54, v6
	v_mad_u64_u32 v[12:13], null, s53, v6, v[3:4]
	v_add3_u32 v4, v9, v14, v17
	v_sub_co_u32 v3, vcc_lo, v8, s20
	v_mul_lo_u32 v23, s6, v11
	v_mad_u64_u32 v[18:19], null, s6, v10, 0
	v_add3_u32 v5, v5, v13, v16
	v_subrev_co_ci_u32_e64 v4, null, s21, v4, vcc_lo
	v_mul_lo_u32 v22, v12, s27
	v_mad_u64_u32 v[16:17], null, v12, s26, 0
	v_mul_lo_u32 v5, v5, s26
	v_mad_u64_u32 v[13:14], null, v6, s12, v[3:4]
	v_mul_lo_u32 v12, s7, v10
	v_mul_lo_u32 v6, v6, s13
	v_mul_lo_u32 v20, v11, s38
	v_mul_lo_u32 v21, v10, s39
	v_mad_u64_u32 v[8:9], null, v10, s38, 0
	v_add3_u32 v17, v17, v22, v5
	v_add3_u32 v19, v19, v23, v12
	;; [unrolled: 1-line block ×3, first 2 shown]
	v_mul_lo_u32 v12, s5, v13
	v_lshlrev_b64 v[16:17], 1, v[16:17]
	v_add3_u32 v9, v9, v21, v20
	v_mad_u64_u32 v[18:19], null, s4, v13, v[18:19]
	v_mul_lo_u32 v13, s4, v5
	v_sub_co_u32 v5, vcc_lo, v8, s22
	v_lshlrev_b64 v[7:8], 1, v[10:11]
	v_subrev_co_ci_u32_e64 v6, null, s23, v9, vcc_lo
	v_add_co_u32 v9, vcc_lo, s28, v16
	v_add_co_ci_u32_e64 v10, null, s29, v17, vcc_lo
	v_add3_u32 v11, v12, v19, v13
	v_add_co_u32 v7, vcc_lo, v9, v7
	v_add_co_ci_u32_e64 v8, null, v10, v8, vcc_lo
	v_add_co_u32 v9, vcc_lo, s55, v18
	v_add_co_ci_u32_e64 v10, null, s56, v11, vcc_lo
	s_branch .LBB5_14
.LBB5_13:                               ;   in Loop: Header=BB5_14 Depth=2
	s_inst_prefetch 0x2
	v_add_co_u32 v9, vcc_lo, v9, s10
	s_add_u32 s46, s46, 1
	v_add_co_ci_u32_e64 v10, null, s11, v10, vcc_lo
	s_addc_u32 s47, s47, 0
	s_cmp_eq_u64 s[46:47], s[16:17]
	s_cbranch_scc1 .LBB5_2
.LBB5_14:                               ;   Parent Loop BB5_3 Depth=1
                                        ; =>  This Loop Header: Depth=2
                                        ;       Child Loop BB5_17 Depth 3
	s_andn2_b32 vcc_lo, exec_lo, s50
	s_cbranch_vccnz .LBB5_13
; %bb.15:                               ;   in Loop: Header=BB5_14 Depth=2
	v_mad_u64_u32 v[11:12], null, s46, s40, v[3:4]
	s_mul_i32 s0, s47, s40
	s_mul_i32 s1, s46, s41
	v_mov_b32_e32 v14, v10
	v_mov_b32_e32 v13, v9
	s_mov_b64 s[48:49], s[18:19]
	v_add3_u32 v12, s1, s0, v12
	v_cmp_lt_i64_e32 vcc_lo, -1, v[11:12]
	v_cmp_gt_i64_e64 s0, s[12:13], v[11:12]
	v_mov_b32_e32 v12, v6
	v_mov_b32_e32 v11, v5
	s_inst_prefetch 0x1
	s_branch .LBB5_17
	.p2align	6
.LBB5_16:                               ;   in Loop: Header=BB5_17 Depth=3
	s_or_b32 exec_lo, exec_lo, s1
	v_add_co_u32 v13, s1, v13, s30
	v_add_co_ci_u32_e64 v14, null, s31, v14, s1
	v_add_co_u32 v11, s1, v11, s42
	s_waitcnt vmcnt(0)
	global_store_short v[7:8], v16, off
	v_add_co_ci_u32_e64 v12, null, s43, v12, s1
	v_add_co_u32 v7, s1, v7, s34
	s_add_u32 s48, s48, -1
	v_add_co_ci_u32_e64 v8, null, s35, v8, s1
	s_addc_u32 s49, s49, -1
	s_cmp_eq_u64 s[48:49], 0
	s_cbranch_scc1 .LBB5_13
.LBB5_17:                               ;   Parent Loop BB5_3 Depth=1
                                        ;     Parent Loop BB5_14 Depth=2
                                        ; =>    This Inner Loop Header: Depth=3
	v_cmp_lt_i64_e64 s1, -1, v[11:12]
	v_cmp_gt_i64_e64 s2, s[14:15], v[11:12]
	v_mov_b32_e32 v16, 0
	s_and_b32 s1, vcc_lo, s1
	s_and_b32 s1, s0, s1
	s_and_b32 s2, s1, s2
	s_and_saveexec_b32 s1, s2
	s_cbranch_execz .LBB5_16
; %bb.18:                               ;   in Loop: Header=BB5_17 Depth=3
	global_load_ushort v16, v[13:14], off
	s_branch .LBB5_16
.LBB5_19:
	s_endpgm
	.section	.rodata,"a",@progbits
	.p2align	6, 0x0
	.amdhsa_kernel _ZN2at6native13im2col_kernelIN3c108BFloat16EEEvlPKT_llllllllllllPS4_
		.amdhsa_group_segment_fixed_size 0
		.amdhsa_private_segment_fixed_size 0
		.amdhsa_kernarg_size 376
		.amdhsa_user_sgpr_count 6
		.amdhsa_user_sgpr_private_segment_buffer 1
		.amdhsa_user_sgpr_dispatch_ptr 0
		.amdhsa_user_sgpr_queue_ptr 0
		.amdhsa_user_sgpr_kernarg_segment_ptr 1
		.amdhsa_user_sgpr_dispatch_id 0
		.amdhsa_user_sgpr_flat_scratch_init 0
		.amdhsa_user_sgpr_private_segment_size 0
		.amdhsa_wavefront_size32 1
		.amdhsa_uses_dynamic_stack 0
		.amdhsa_system_sgpr_private_segment_wavefront_offset 0
		.amdhsa_system_sgpr_workgroup_id_x 1
		.amdhsa_system_sgpr_workgroup_id_y 0
		.amdhsa_system_sgpr_workgroup_id_z 0
		.amdhsa_system_sgpr_workgroup_info 0
		.amdhsa_system_vgpr_workitem_id 0
		.amdhsa_next_free_vgpr 24
		.amdhsa_next_free_sgpr 63
		.amdhsa_reserve_vcc 1
		.amdhsa_reserve_flat_scratch 0
		.amdhsa_float_round_mode_32 0
		.amdhsa_float_round_mode_16_64 0
		.amdhsa_float_denorm_mode_32 3
		.amdhsa_float_denorm_mode_16_64 3
		.amdhsa_dx10_clamp 1
		.amdhsa_ieee_mode 1
		.amdhsa_fp16_overflow 0
		.amdhsa_workgroup_processor_mode 1
		.amdhsa_memory_ordered 1
		.amdhsa_forward_progress 1
		.amdhsa_shared_vgpr_count 0
		.amdhsa_exception_fp_ieee_invalid_op 0
		.amdhsa_exception_fp_denorm_src 0
		.amdhsa_exception_fp_ieee_div_zero 0
		.amdhsa_exception_fp_ieee_overflow 0
		.amdhsa_exception_fp_ieee_underflow 0
		.amdhsa_exception_fp_ieee_inexact 0
		.amdhsa_exception_int_div_zero 0
	.end_amdhsa_kernel
	.section	.text._ZN2at6native13im2col_kernelIN3c108BFloat16EEEvlPKT_llllllllllllPS4_,"axG",@progbits,_ZN2at6native13im2col_kernelIN3c108BFloat16EEEvlPKT_llllllllllllPS4_,comdat
.Lfunc_end5:
	.size	_ZN2at6native13im2col_kernelIN3c108BFloat16EEEvlPKT_llllllllllllPS4_, .Lfunc_end5-_ZN2at6native13im2col_kernelIN3c108BFloat16EEEvlPKT_llllllllllllPS4_
                                        ; -- End function
	.set _ZN2at6native13im2col_kernelIN3c108BFloat16EEEvlPKT_llllllllllllPS4_.num_vgpr, 24
	.set _ZN2at6native13im2col_kernelIN3c108BFloat16EEEvlPKT_llllllllllllPS4_.num_agpr, 0
	.set _ZN2at6native13im2col_kernelIN3c108BFloat16EEEvlPKT_llllllllllllPS4_.numbered_sgpr, 63
	.set _ZN2at6native13im2col_kernelIN3c108BFloat16EEEvlPKT_llllllllllllPS4_.num_named_barrier, 0
	.set _ZN2at6native13im2col_kernelIN3c108BFloat16EEEvlPKT_llllllllllllPS4_.private_seg_size, 0
	.set _ZN2at6native13im2col_kernelIN3c108BFloat16EEEvlPKT_llllllllllllPS4_.uses_vcc, 1
	.set _ZN2at6native13im2col_kernelIN3c108BFloat16EEEvlPKT_llllllllllllPS4_.uses_flat_scratch, 0
	.set _ZN2at6native13im2col_kernelIN3c108BFloat16EEEvlPKT_llllllllllllPS4_.has_dyn_sized_stack, 0
	.set _ZN2at6native13im2col_kernelIN3c108BFloat16EEEvlPKT_llllllllllllPS4_.has_recursion, 0
	.set _ZN2at6native13im2col_kernelIN3c108BFloat16EEEvlPKT_llllllllllllPS4_.has_indirect_call, 0
	.section	.AMDGPU.csdata,"",@progbits
; Kernel info:
; codeLenInByte = 2568
; TotalNumSgprs: 65
; NumVgprs: 24
; ScratchSize: 0
; MemoryBound: 0
; FloatMode: 240
; IeeeMode: 1
; LDSByteSize: 0 bytes/workgroup (compile time only)
; SGPRBlocks: 0
; VGPRBlocks: 2
; NumSGPRsForWavesPerEU: 65
; NumVGPRsForWavesPerEU: 24
; Occupancy: 16
; WaveLimiterHint : 0
; COMPUTE_PGM_RSRC2:SCRATCH_EN: 0
; COMPUTE_PGM_RSRC2:USER_SGPR: 6
; COMPUTE_PGM_RSRC2:TRAP_HANDLER: 0
; COMPUTE_PGM_RSRC2:TGID_X_EN: 1
; COMPUTE_PGM_RSRC2:TGID_Y_EN: 0
; COMPUTE_PGM_RSRC2:TGID_Z_EN: 0
; COMPUTE_PGM_RSRC2:TIDIG_COMP_CNT: 0
	.section	.text._ZN2at6native13im2col_kernelIbEEvlPKT_llllllllllllPS2_,"axG",@progbits,_ZN2at6native13im2col_kernelIbEEvlPKT_llllllllllllPS2_,comdat
	.protected	_ZN2at6native13im2col_kernelIbEEvlPKT_llllllllllllPS2_ ; -- Begin function _ZN2at6native13im2col_kernelIbEEvlPKT_llllllllllllPS2_
	.globl	_ZN2at6native13im2col_kernelIbEEvlPKT_llllllllllllPS2_
	.p2align	8
	.type	_ZN2at6native13im2col_kernelIbEEvlPKT_llllllllllllPS2_,@function
_ZN2at6native13im2col_kernelIbEEvlPKT_llllllllllllPS2_: ; @_ZN2at6native13im2col_kernelIbEEvlPKT_llllllllllllPS2_
; %bb.0:
	s_clause 0x1
	s_load_dword s2, s[4:5], 0x84
	s_load_dwordx16 s[8:23], s[4:5], 0x0
	v_mov_b32_e32 v2, 0
	s_add_u32 s0, s4, 0x78
	s_addc_u32 s1, s5, 0
	s_mov_b32 s3, exec_lo
	v_mov_b32_e32 v1, v2
	s_waitcnt lgkmcnt(0)
	s_and_b32 s2, s2, 0xffff
	v_mad_u64_u32 v[0:1], null, s2, s6, v[0:1]
	v_cmpx_gt_i64_e64 s[8:9], v[0:1]
	s_cbranch_execz .LBB6_19
; %bb.1:
	s_clause 0x1
	s_load_dwordx8 s[24:31], s[4:5], 0x60
	s_load_dwordx8 s[36:43], s[4:5], 0x40
	s_load_dword s0, s[0:1], 0x0
	v_cmp_gt_i64_e64 s33, s[16:17], 0
	v_cmp_gt_i64_e64 s44, s[18:19], 0
	s_mov_b32 s48, 0
	s_waitcnt lgkmcnt(0)
	v_cvt_f32_u32_e32 v3, s26
	s_mul_i32 s1, s18, s25
	s_mul_hi_u32 s3, s18, s24
	s_mul_i32 s4, s19, s24
	s_mul_i32 s5, s18, s24
	v_rcp_iflag_f32_e32 v3, v3
	s_add_i32 s1, s3, s1
	s_mul_i32 s3, s5, s17
	s_mul_hi_u32 s30, s5, s16
	s_add_i32 s1, s1, s4
	s_mul_i32 s6, s26, s25
	s_mul_hi_u32 s7, s26, s24
	s_add_i32 s3, s30, s3
	s_mul_i32 s1, s1, s16
	s_mul_i32 s47, s0, s2
	v_mul_f32_e32 v3, 0x4f7ffffe, v3
	s_add_i32 s35, s3, s1
	s_add_i32 s1, s7, s6
	s_mul_i32 s3, s27, s24
	s_mul_i32 s0, s40, s15
	s_add_i32 s45, s1, s3
	s_mul_hi_u32 s1, s40, s14
	v_cvt_u32_f32_e32 v13, v3
	s_add_i32 s0, s1, s0
	s_mul_i32 s1, s41, s14
	s_mul_i32 s34, s5, s16
	;; [unrolled: 1-line block ×3, first 2 shown]
	s_add_i32 s49, s0, s1
	s_mul_i32 s50, s40, s14
	s_ashr_i32 s4, s27, 31
	s_branch .LBB6_3
.LBB6_2:                                ;   in Loop: Header=BB6_3 Depth=1
	v_add_co_u32 v0, vcc_lo, v0, s47
	v_add_co_ci_u32_e64 v1, null, 0, v1, vcc_lo
	v_cmp_le_i64_e32 vcc_lo, s[8:9], v[0:1]
	s_or_b32 s48, vcc_lo, s48
	s_andn2_b32 exec_lo, exec_lo, s48
	s_cbranch_execz .LBB6_19
.LBB6_3:                                ; =>This Loop Header: Depth=1
                                        ;     Child Loop BB6_14 Depth 2
                                        ;       Child Loop BB6_17 Depth 3
	v_or_b32_e32 v3, s27, v1
                                        ; implicit-def: $vgpr4_vgpr5
	s_mov_b32 s0, exec_lo
	v_cmpx_ne_u64_e32 0, v[2:3]
	s_xor_b32 s1, exec_lo, s0
	s_cbranch_execz .LBB6_5
; %bb.4:                                ;   in Loop: Header=BB6_3 Depth=1
	s_add_u32 s2, s26, s4
	s_mov_b32 s5, s4
	s_addc_u32 s3, s27, s4
	v_ashrrev_i32_e32 v9, 31, v1
	s_xor_b64 s[2:3], s[2:3], s[4:5]
	v_cvt_f32_u32_e32 v3, s2
	v_cvt_f32_u32_e32 v4, s3
	s_sub_u32 s0, 0, s2
	s_subb_u32 s7, 0, s3
	v_add_co_u32 v5, vcc_lo, v0, v9
	v_fmac_f32_e32 v3, 0x4f800000, v4
	v_xor_b32_e32 v10, v5, v9
	v_rcp_f32_e32 v3, v3
	v_mul_f32_e32 v3, 0x5f7ffffc, v3
	v_mul_f32_e32 v4, 0x2f800000, v3
	v_trunc_f32_e32 v4, v4
	v_fmac_f32_e32 v3, 0xcf800000, v4
	v_cvt_u32_f32_e32 v4, v4
	v_cvt_u32_f32_e32 v3, v3
	v_readfirstlane_b32 s5, v4
	v_readfirstlane_b32 s6, v3
	s_mul_i32 s30, s0, s5
	v_add_co_ci_u32_e64 v3, null, v1, v9, vcc_lo
	s_mul_hi_u32 s51, s0, s6
	s_mul_i32 s31, s7, s6
	s_add_i32 s30, s51, s30
	s_mul_i32 s52, s0, s6
	s_add_i32 s30, s30, s31
	s_mul_hi_u32 s51, s6, s52
	s_mul_i32 s54, s6, s30
	s_mul_hi_u32 s53, s5, s52
	s_mul_i32 s31, s5, s52
	s_mul_hi_u32 s52, s6, s30
	s_add_u32 s51, s51, s54
	s_addc_u32 s52, 0, s52
	s_mul_hi_u32 s55, s5, s30
	s_add_u32 s31, s51, s31
	s_mul_i32 s30, s5, s30
	s_addc_u32 s31, s52, s53
	s_addc_u32 s51, s55, 0
	s_add_u32 s30, s31, s30
	s_addc_u32 s31, 0, s51
	s_add_u32 s6, s6, s30
	s_cselect_b32 s30, -1, 0
	s_mul_hi_u32 s51, s0, s6
	s_cmp_lg_u32 s30, 0
	s_mul_i32 s30, s0, s6
	s_addc_u32 s5, s5, s31
	s_mul_i32 s7, s7, s6
	s_mul_i32 s0, s0, s5
	s_mul_hi_u32 s31, s6, s30
	s_add_i32 s0, s51, s0
	s_mul_hi_u32 s51, s5, s30
	s_add_i32 s0, s0, s7
	s_mul_i32 s7, s5, s30
	s_mul_i32 s53, s6, s0
	s_mul_hi_u32 s52, s6, s0
	s_add_u32 s31, s31, s53
	s_addc_u32 s52, 0, s52
	s_mul_hi_u32 s30, s5, s0
	s_add_u32 s7, s31, s7
	s_mul_i32 s0, s5, s0
	s_addc_u32 s7, s52, s51
	s_addc_u32 s30, s30, 0
	s_add_u32 s0, s7, s0
	s_addc_u32 s7, 0, s30
	s_add_u32 s0, s6, s0
	s_cselect_b32 s6, -1, 0
	v_xor_b32_e32 v11, v3, v9
	s_cmp_lg_u32 s6, 0
	v_mul_hi_u32 v12, v10, s0
	s_addc_u32 s5, s5, s7
	v_mad_u64_u32 v[3:4], null, v10, s5, 0
	v_mad_u64_u32 v[5:6], null, v11, s0, 0
	v_mad_u64_u32 v[7:8], null, v11, s5, 0
	v_add_co_u32 v3, vcc_lo, v12, v3
	v_add_co_ci_u32_e64 v4, null, 0, v4, vcc_lo
	v_add_co_u32 v3, vcc_lo, v3, v5
	v_add_co_ci_u32_e32 v3, vcc_lo, v4, v6, vcc_lo
	v_add_co_ci_u32_e32 v4, vcc_lo, 0, v8, vcc_lo
	v_add_co_u32 v5, vcc_lo, v3, v7
	v_add_co_ci_u32_e64 v6, null, 0, v4, vcc_lo
	v_mul_lo_u32 v7, s3, v5
	v_mad_u64_u32 v[3:4], null, s2, v5, 0
	v_mul_lo_u32 v8, s2, v6
	v_sub_co_u32 v3, vcc_lo, v10, v3
	v_add3_u32 v4, v4, v8, v7
	v_add_co_u32 v8, s0, v5, 2
	v_add_co_ci_u32_e64 v10, null, 0, v6, s0
	v_sub_nc_u32_e32 v7, v11, v4
	v_sub_co_u32 v12, s0, v3, s2
	v_sub_co_ci_u32_e64 v4, null, v11, v4, vcc_lo
	v_subrev_co_ci_u32_e64 v7, null, s3, v7, vcc_lo
	v_cmp_le_u32_e32 vcc_lo, s2, v12
	v_subrev_co_ci_u32_e64 v7, null, 0, v7, s0
	v_cndmask_b32_e64 v11, 0, -1, vcc_lo
	v_cmp_le_u32_e32 vcc_lo, s3, v7
	v_cndmask_b32_e64 v12, 0, -1, vcc_lo
	v_cmp_le_u32_e32 vcc_lo, s2, v3
	;; [unrolled: 2-line block ×3, first 2 shown]
	v_cndmask_b32_e64 v14, 0, -1, vcc_lo
	v_cmp_eq_u32_e32 vcc_lo, s3, v7
	v_cndmask_b32_e32 v7, v12, v11, vcc_lo
	v_add_co_u32 v11, vcc_lo, v5, 1
	v_add_co_ci_u32_e64 v12, null, 0, v6, vcc_lo
	v_cmp_eq_u32_e32 vcc_lo, s3, v4
	v_cndmask_b32_e32 v3, v14, v3, vcc_lo
	v_cmp_ne_u32_e32 vcc_lo, 0, v7
	v_xor_b32_e32 v7, s4, v9
	v_cmp_ne_u32_e64 s0, 0, v3
	v_cndmask_b32_e32 v3, v11, v8, vcc_lo
	v_cndmask_b32_e32 v4, v12, v10, vcc_lo
	v_cndmask_b32_e64 v3, v5, v3, s0
	v_cndmask_b32_e64 v4, v6, v4, s0
	v_xor_b32_e32 v3, v3, v7
	v_xor_b32_e32 v5, v4, v7
	v_sub_co_u32 v4, vcc_lo, v3, v7
	v_sub_co_ci_u32_e64 v5, null, v5, v7, vcc_lo
.LBB6_5:                                ;   in Loop: Header=BB6_3 Depth=1
	s_andn2_saveexec_b32 s0, s1
	s_cbranch_execz .LBB6_7
; %bb.6:                                ;   in Loop: Header=BB6_3 Depth=1
	s_sub_i32 s1, 0, s26
	v_mul_lo_u32 v3, s1, v13
	v_mul_hi_u32 v3, v13, v3
	v_add_nc_u32_e32 v3, v13, v3
	v_mul_hi_u32 v3, v0, v3
	v_mul_lo_u32 v4, v3, s26
	v_add_nc_u32_e32 v5, 1, v3
	v_sub_nc_u32_e32 v4, v0, v4
	v_subrev_nc_u32_e32 v6, s26, v4
	v_cmp_le_u32_e32 vcc_lo, s26, v4
	v_cndmask_b32_e32 v4, v4, v6, vcc_lo
	v_cndmask_b32_e32 v3, v3, v5, vcc_lo
	v_cmp_le_u32_e32 vcc_lo, s26, v4
	v_add_nc_u32_e32 v5, 1, v3
	v_cndmask_b32_e32 v4, v3, v5, vcc_lo
	v_mov_b32_e32 v5, v2
.LBB6_7:                                ;   in Loop: Header=BB6_3 Depth=1
	s_or_b32 exec_lo, exec_lo, s0
	v_or_b32_e32 v3, s25, v5
                                        ; implicit-def: $vgpr6_vgpr7
	s_mov_b32 s0, exec_lo
	v_cmpx_ne_u64_e32 0, v[2:3]
	s_xor_b32 s1, exec_lo, s0
	s_cbranch_execnz .LBB6_10
; %bb.8:                                ;   in Loop: Header=BB6_3 Depth=1
	s_andn2_saveexec_b32 s0, s1
	s_cbranch_execnz .LBB6_11
.LBB6_9:                                ;   in Loop: Header=BB6_3 Depth=1
	s_or_b32 exec_lo, exec_lo, s0
	s_andn2_b32 vcc_lo, exec_lo, s33
	s_cbranch_vccz .LBB6_12
	s_branch .LBB6_2
.LBB6_10:                               ;   in Loop: Header=BB6_3 Depth=1
	s_ashr_i32 s2, s25, 31
	v_ashrrev_i32_e32 v12, 31, v5
	s_add_u32 s6, s24, s2
	s_mov_b32 s3, s2
	s_addc_u32 s7, s25, s2
	s_xor_b64 s[6:7], s[6:7], s[2:3]
	v_add_co_u32 v7, vcc_lo, v4, v12
	v_cvt_f32_u32_e32 v3, s6
	v_cvt_f32_u32_e32 v6, s7
	s_sub_u32 s5, 0, s6
	s_subb_u32 s30, 0, s7
	v_add_co_ci_u32_e64 v8, null, v5, v12, vcc_lo
	v_fmac_f32_e32 v3, 0x4f800000, v6
	v_xor_b32_e32 v14, v8, v12
	v_rcp_f32_e32 v3, v3
	v_mul_f32_e32 v3, 0x5f7ffffc, v3
	v_mul_f32_e32 v6, 0x2f800000, v3
	v_trunc_f32_e32 v6, v6
	v_fmac_f32_e32 v3, 0xcf800000, v6
	v_cvt_u32_f32_e32 v6, v6
	v_cvt_u32_f32_e32 v3, v3
	v_readfirstlane_b32 s0, v6
	v_readfirstlane_b32 s3, v3
	s_mul_i32 s31, s5, s0
	v_xor_b32_e32 v3, v7, v12
	s_mul_hi_u32 s52, s5, s3
	s_mul_i32 s51, s30, s3
	s_add_i32 s31, s52, s31
	s_mul_i32 s53, s5, s3
	s_add_i32 s31, s31, s51
	s_mul_hi_u32 s52, s3, s53
	s_mul_i32 s55, s3, s31
	s_mul_hi_u32 s54, s0, s53
	s_mul_i32 s51, s0, s53
	s_mul_hi_u32 s53, s3, s31
	s_add_u32 s52, s52, s55
	s_addc_u32 s53, 0, s53
	s_mul_hi_u32 s56, s0, s31
	s_add_u32 s51, s52, s51
	s_mul_i32 s31, s0, s31
	s_addc_u32 s51, s53, s54
	s_addc_u32 s52, s56, 0
	s_add_u32 s31, s51, s31
	s_addc_u32 s51, 0, s52
	s_add_u32 s3, s3, s31
	s_cselect_b32 s31, -1, 0
	s_mul_hi_u32 s52, s5, s3
	s_cmp_lg_u32 s31, 0
	s_mul_i32 s31, s5, s3
	s_addc_u32 s0, s0, s51
	s_mul_i32 s30, s30, s3
	s_mul_i32 s5, s5, s0
	s_mul_hi_u32 s51, s3, s31
	s_add_i32 s5, s52, s5
	s_mul_hi_u32 s52, s0, s31
	s_add_i32 s5, s5, s30
	s_mul_i32 s30, s0, s31
	s_mul_i32 s54, s3, s5
	s_mul_hi_u32 s53, s3, s5
	s_add_u32 s51, s51, s54
	s_addc_u32 s53, 0, s53
	s_mul_hi_u32 s31, s0, s5
	s_add_u32 s30, s51, s30
	s_mul_i32 s5, s0, s5
	s_addc_u32 s30, s53, s52
	s_addc_u32 s31, s31, 0
	s_add_u32 s5, s30, s5
	s_addc_u32 s30, 0, s31
	s_add_u32 s3, s3, s5
	s_cselect_b32 s5, -1, 0
	v_mul_hi_u32 v15, v3, s3
	s_cmp_lg_u32 s5, 0
	v_mad_u64_u32 v[8:9], null, v14, s3, 0
	s_addc_u32 s0, s0, s30
	v_mad_u64_u32 v[6:7], null, v3, s0, 0
	v_mad_u64_u32 v[10:11], null, v14, s0, 0
	v_add_co_u32 v6, vcc_lo, v15, v6
	v_add_co_ci_u32_e64 v7, null, 0, v7, vcc_lo
	v_add_co_u32 v6, vcc_lo, v6, v8
	v_add_co_ci_u32_e32 v6, vcc_lo, v7, v9, vcc_lo
	v_add_co_ci_u32_e32 v7, vcc_lo, 0, v11, vcc_lo
	v_add_co_u32 v8, vcc_lo, v6, v10
	v_add_co_ci_u32_e64 v9, null, 0, v7, vcc_lo
	v_mul_lo_u32 v10, s7, v8
	v_mad_u64_u32 v[6:7], null, s6, v8, 0
	v_mul_lo_u32 v11, s6, v9
	v_sub_co_u32 v3, vcc_lo, v3, v6
	v_add3_u32 v7, v7, v11, v10
	v_sub_nc_u32_e32 v10, v14, v7
	v_sub_co_ci_u32_e64 v7, null, v14, v7, vcc_lo
	v_subrev_co_ci_u32_e64 v6, null, s7, v10, vcc_lo
	v_add_co_u32 v10, s0, v8, 2
	v_add_co_ci_u32_e64 v11, null, 0, v9, s0
	v_sub_co_u32 v15, s0, v3, s6
	v_subrev_co_ci_u32_e64 v6, null, 0, v6, s0
	v_cmp_le_u32_e32 vcc_lo, s6, v15
	v_cndmask_b32_e64 v14, 0, -1, vcc_lo
	v_cmp_le_u32_e32 vcc_lo, s7, v6
	v_cndmask_b32_e64 v15, 0, -1, vcc_lo
	;; [unrolled: 2-line block ×4, first 2 shown]
	v_cmp_eq_u32_e32 vcc_lo, s7, v6
	v_cndmask_b32_e32 v6, v15, v14, vcc_lo
	v_add_co_u32 v14, vcc_lo, v8, 1
	v_add_co_ci_u32_e64 v15, null, 0, v9, vcc_lo
	v_cmp_eq_u32_e32 vcc_lo, s7, v7
	v_xor_b32_e32 v7, s2, v12
	v_cndmask_b32_e32 v3, v16, v3, vcc_lo
	v_cmp_ne_u32_e32 vcc_lo, 0, v6
	v_cmp_ne_u32_e64 s0, 0, v3
	v_cndmask_b32_e32 v3, v14, v10, vcc_lo
	v_cndmask_b32_e32 v6, v15, v11, vcc_lo
	v_cndmask_b32_e64 v3, v8, v3, s0
	v_cndmask_b32_e64 v6, v9, v6, s0
	v_xor_b32_e32 v3, v3, v7
	v_xor_b32_e32 v8, v6, v7
	v_sub_co_u32 v6, vcc_lo, v3, v7
	v_sub_co_ci_u32_e64 v7, null, v8, v7, vcc_lo
	s_andn2_saveexec_b32 s0, s1
	s_cbranch_execz .LBB6_9
.LBB6_11:                               ;   in Loop: Header=BB6_3 Depth=1
	v_cvt_f32_u32_e32 v3, s24
	s_sub_i32 s1, 0, s24
	v_rcp_iflag_f32_e32 v3, v3
	v_mul_f32_e32 v3, 0x4f7ffffe, v3
	v_cvt_u32_f32_e32 v3, v3
	v_mul_lo_u32 v6, s1, v3
	v_mul_hi_u32 v6, v3, v6
	v_add_nc_u32_e32 v3, v3, v6
	v_mul_hi_u32 v3, v4, v3
	v_mul_lo_u32 v6, v3, s24
	v_add_nc_u32_e32 v7, 1, v3
	v_sub_nc_u32_e32 v6, v4, v6
	v_subrev_nc_u32_e32 v8, s24, v6
	v_cmp_le_u32_e32 vcc_lo, s24, v6
	v_cndmask_b32_e32 v6, v6, v8, vcc_lo
	v_cndmask_b32_e32 v3, v3, v7, vcc_lo
	v_cmp_le_u32_e32 vcc_lo, s24, v6
	v_add_nc_u32_e32 v7, 1, v3
	v_cndmask_b32_e32 v6, v3, v7, vcc_lo
	v_mov_b32_e32 v7, v2
	s_or_b32 exec_lo, exec_lo, s0
	s_andn2_b32 vcc_lo, exec_lo, s33
	s_cbranch_vccnz .LBB6_2
.LBB6_12:                               ;   in Loop: Header=BB6_3 Depth=1
	v_mul_lo_u32 v3, v7, s24
	v_mul_lo_u32 v10, v6, s25
	v_mad_u64_u32 v[8:9], null, v6, s24, 0
	v_mul_lo_u32 v12, v5, s26
	v_mul_lo_u32 v14, v4, s27
	v_mul_lo_u32 v17, v7, s12
	v_mul_lo_u32 v18, s34, v7
	v_mul_lo_u32 v19, s35, v6
	v_mul_lo_u32 v16, v6, s13
	v_add3_u32 v3, v9, v10, v3
	v_sub_co_u32 v8, vcc_lo, v4, v8
	s_mov_b64 s[6:7], 0
	v_sub_co_ci_u32_e64 v9, null, v5, v3, vcc_lo
	v_mad_u64_u32 v[3:4], null, v4, s26, 0
	v_mul_lo_u32 v5, v8, s37
	v_mad_u64_u32 v[10:11], null, v8, s36, 0
	v_mul_lo_u32 v15, v9, s36
	v_mad_u64_u32 v[7:8], null, s34, v6, v[8:9]
	v_add3_u32 v12, v4, v14, v12
	v_sub_co_u32 v14, vcc_lo, v0, v3
	v_sub_co_u32 v3, s0, v10, s20
	v_add3_u32 v4, v11, v5, v15
	v_sub_co_ci_u32_e64 v15, null, v1, v12, vcc_lo
	v_add3_u32 v8, v19, v8, v18
	v_mul_lo_u32 v20, v14, s39
	v_subrev_co_ci_u32_e64 v4, null, s21, v4, s0
	v_mad_u64_u32 v[9:10], null, v14, s38, 0
	v_mul_lo_u32 v21, v15, s38
	v_mad_u64_u32 v[5:6], null, v6, s12, v[3:4]
	v_mul_lo_u32 v18, v7, s27
	v_mad_u64_u32 v[11:12], null, v7, s26, s[28:29]
	v_add3_u32 v7, v17, v6, v16
	v_mul_lo_u32 v16, v8, s26
	v_mul_lo_u32 v17, v5, s15
	v_mad_u64_u32 v[5:6], null, v5, s14, s[10:11]
	v_mul_lo_u32 v19, v7, s14
	v_add3_u32 v8, v10, v20, v21
	v_sub_co_u32 v7, vcc_lo, v9, s22
	v_add3_u32 v10, v16, v12, v18
	v_subrev_co_ci_u32_e64 v8, null, s23, v8, vcc_lo
	v_add_co_u32 v9, vcc_lo, v11, v14
	v_add3_u32 v6, v19, v6, v17
	v_add_co_ci_u32_e64 v10, null, v10, v15, vcc_lo
	s_branch .LBB6_14
.LBB6_13:                               ;   in Loop: Header=BB6_14 Depth=2
	s_inst_prefetch 0x2
	v_add_co_u32 v5, vcc_lo, v5, s50
	s_add_u32 s6, s6, 1
	v_add_co_ci_u32_e64 v6, null, s49, v6, vcc_lo
	s_addc_u32 s7, s7, 0
	s_cmp_eq_u64 s[6:7], s[16:17]
	s_cbranch_scc1 .LBB6_2
.LBB6_14:                               ;   Parent Loop BB6_3 Depth=1
                                        ; =>  This Loop Header: Depth=2
                                        ;       Child Loop BB6_17 Depth 3
	s_andn2_b32 vcc_lo, exec_lo, s44
	s_cbranch_vccnz .LBB6_13
; %bb.15:                               ;   in Loop: Header=BB6_14 Depth=2
	v_mad_u64_u32 v[11:12], null, s6, s40, v[3:4]
	s_mul_i32 s0, s7, s40
	s_mul_i32 s1, s6, s41
	s_mov_b64 s[30:31], s[18:19]
                                        ; implicit-def: $sgpr3
	v_add3_u32 v12, s1, s0, v12
	v_cmp_lt_i64_e32 vcc_lo, -1, v[11:12]
	v_cmp_gt_i64_e64 s0, s[12:13], v[11:12]
	v_mov_b32_e32 v12, v8
	v_mov_b32_e32 v11, v7
	s_inst_prefetch 0x1
	s_branch .LBB6_17
	.p2align	6
.LBB6_16:                               ;   in Loop: Header=BB6_17 Depth=3
	s_or_b32 exec_lo, exec_lo, s2
	v_cndmask_b32_e64 v14, 0, 1, s3
	s_add_u32 s30, s30, -1
	s_addc_u32 s31, s31, -1
	s_cmp_eq_u64 s[30:31], 0
	global_store_byte v[9:10], v14, off
	v_add_co_u32 v9, s1, v9, s46
	v_add_co_ci_u32_e64 v10, null, s45, v10, s1
	v_add_co_u32 v11, s1, v11, s42
	v_add_co_ci_u32_e64 v12, null, s43, v12, s1
	s_cbranch_scc1 .LBB6_13
.LBB6_17:                               ;   Parent Loop BB6_3 Depth=1
                                        ;     Parent Loop BB6_14 Depth=2
                                        ; =>    This Inner Loop Header: Depth=3
	v_cmp_lt_i64_e64 s1, -1, v[11:12]
	v_cmp_gt_i64_e64 s2, s[14:15], v[11:12]
	s_andn2_b32 s3, s3, exec_lo
	s_and_b32 s1, vcc_lo, s1
	s_and_b32 s1, s0, s1
	s_and_b32 s1, s1, s2
	s_and_saveexec_b32 s2, s1
	s_cbranch_execz .LBB6_16
; %bb.18:                               ;   in Loop: Header=BB6_17 Depth=3
	v_add_co_u32 v14, s1, v5, v11
	v_add_co_ci_u32_e64 v15, null, v6, v12, s1
	s_andn2_b32 s3, s3, exec_lo
	global_load_ubyte v14, v[14:15], off
	s_waitcnt vmcnt(0)
	v_and_b32_e32 v14, 1, v14
	v_cmp_eq_u32_e64 s1, 1, v14
	s_and_b32 s1, s1, exec_lo
	s_or_b32 s3, s3, s1
	s_branch .LBB6_16
.LBB6_19:
	s_endpgm
	.section	.rodata,"a",@progbits
	.p2align	6, 0x0
	.amdhsa_kernel _ZN2at6native13im2col_kernelIbEEvlPKT_llllllllllllPS2_
		.amdhsa_group_segment_fixed_size 0
		.amdhsa_private_segment_fixed_size 0
		.amdhsa_kernarg_size 376
		.amdhsa_user_sgpr_count 6
		.amdhsa_user_sgpr_private_segment_buffer 1
		.amdhsa_user_sgpr_dispatch_ptr 0
		.amdhsa_user_sgpr_queue_ptr 0
		.amdhsa_user_sgpr_kernarg_segment_ptr 1
		.amdhsa_user_sgpr_dispatch_id 0
		.amdhsa_user_sgpr_flat_scratch_init 0
		.amdhsa_user_sgpr_private_segment_size 0
		.amdhsa_wavefront_size32 1
		.amdhsa_uses_dynamic_stack 0
		.amdhsa_system_sgpr_private_segment_wavefront_offset 0
		.amdhsa_system_sgpr_workgroup_id_x 1
		.amdhsa_system_sgpr_workgroup_id_y 0
		.amdhsa_system_sgpr_workgroup_id_z 0
		.amdhsa_system_sgpr_workgroup_info 0
		.amdhsa_system_vgpr_workitem_id 0
		.amdhsa_next_free_vgpr 22
		.amdhsa_next_free_sgpr 57
		.amdhsa_reserve_vcc 1
		.amdhsa_reserve_flat_scratch 0
		.amdhsa_float_round_mode_32 0
		.amdhsa_float_round_mode_16_64 0
		.amdhsa_float_denorm_mode_32 3
		.amdhsa_float_denorm_mode_16_64 3
		.amdhsa_dx10_clamp 1
		.amdhsa_ieee_mode 1
		.amdhsa_fp16_overflow 0
		.amdhsa_workgroup_processor_mode 1
		.amdhsa_memory_ordered 1
		.amdhsa_forward_progress 1
		.amdhsa_shared_vgpr_count 0
		.amdhsa_exception_fp_ieee_invalid_op 0
		.amdhsa_exception_fp_denorm_src 0
		.amdhsa_exception_fp_ieee_div_zero 0
		.amdhsa_exception_fp_ieee_overflow 0
		.amdhsa_exception_fp_ieee_underflow 0
		.amdhsa_exception_fp_ieee_inexact 0
		.amdhsa_exception_int_div_zero 0
	.end_amdhsa_kernel
	.section	.text._ZN2at6native13im2col_kernelIbEEvlPKT_llllllllllllPS2_,"axG",@progbits,_ZN2at6native13im2col_kernelIbEEvlPKT_llllllllllllPS2_,comdat
.Lfunc_end6:
	.size	_ZN2at6native13im2col_kernelIbEEvlPKT_llllllllllllPS2_, .Lfunc_end6-_ZN2at6native13im2col_kernelIbEEvlPKT_llllllllllllPS2_
                                        ; -- End function
	.set _ZN2at6native13im2col_kernelIbEEvlPKT_llllllllllllPS2_.num_vgpr, 22
	.set _ZN2at6native13im2col_kernelIbEEvlPKT_llllllllllllPS2_.num_agpr, 0
	.set _ZN2at6native13im2col_kernelIbEEvlPKT_llllllllllllPS2_.numbered_sgpr, 57
	.set _ZN2at6native13im2col_kernelIbEEvlPKT_llllllllllllPS2_.num_named_barrier, 0
	.set _ZN2at6native13im2col_kernelIbEEvlPKT_llllllllllllPS2_.private_seg_size, 0
	.set _ZN2at6native13im2col_kernelIbEEvlPKT_llllllllllllPS2_.uses_vcc, 1
	.set _ZN2at6native13im2col_kernelIbEEvlPKT_llllllllllllPS2_.uses_flat_scratch, 0
	.set _ZN2at6native13im2col_kernelIbEEvlPKT_llllllllllllPS2_.has_dyn_sized_stack, 0
	.set _ZN2at6native13im2col_kernelIbEEvlPKT_llllllllllllPS2_.has_recursion, 0
	.set _ZN2at6native13im2col_kernelIbEEvlPKT_llllllllllllPS2_.has_indirect_call, 0
	.section	.AMDGPU.csdata,"",@progbits
; Kernel info:
; codeLenInByte = 2472
; TotalNumSgprs: 59
; NumVgprs: 22
; ScratchSize: 0
; MemoryBound: 0
; FloatMode: 240
; IeeeMode: 1
; LDSByteSize: 0 bytes/workgroup (compile time only)
; SGPRBlocks: 0
; VGPRBlocks: 2
; NumSGPRsForWavesPerEU: 59
; NumVGPRsForWavesPerEU: 22
; Occupancy: 16
; WaveLimiterHint : 0
; COMPUTE_PGM_RSRC2:SCRATCH_EN: 0
; COMPUTE_PGM_RSRC2:USER_SGPR: 6
; COMPUTE_PGM_RSRC2:TRAP_HANDLER: 0
; COMPUTE_PGM_RSRC2:TGID_X_EN: 1
; COMPUTE_PGM_RSRC2:TGID_Y_EN: 0
; COMPUTE_PGM_RSRC2:TGID_Z_EN: 0
; COMPUTE_PGM_RSRC2:TIDIG_COMP_CNT: 0
	.section	.AMDGPU.gpr_maximums,"",@progbits
	.set amdgpu.max_num_vgpr, 0
	.set amdgpu.max_num_agpr, 0
	.set amdgpu.max_num_sgpr, 0
	.section	.AMDGPU.csdata,"",@progbits
	.type	__hip_cuid_7b27bfefde95f83,@object ; @__hip_cuid_7b27bfefde95f83
	.section	.bss,"aw",@nobits
	.globl	__hip_cuid_7b27bfefde95f83
__hip_cuid_7b27bfefde95f83:
	.byte	0                               ; 0x0
	.size	__hip_cuid_7b27bfefde95f83, 1

	.ident	"AMD clang version 22.0.0git (https://github.com/RadeonOpenCompute/llvm-project roc-7.2.4 26084 f58b06dce1f9c15707c5f808fd002e18c2accf7e)"
	.section	".note.GNU-stack","",@progbits
	.addrsig
	.addrsig_sym __hip_cuid_7b27bfefde95f83
	.amdgpu_metadata
---
amdhsa.kernels:
  - .args:
      - .offset:         0
        .size:           8
        .value_kind:     by_value
      - .address_space:  global
        .offset:         8
        .size:           8
        .value_kind:     global_buffer
      - .offset:         16
        .size:           8
        .value_kind:     by_value
      - .offset:         24
        .size:           8
        .value_kind:     by_value
      - .offset:         32
        .size:           8
        .value_kind:     by_value
      - .offset:         40
        .size:           8
        .value_kind:     by_value
      - .offset:         48
        .size:           8
        .value_kind:     by_value
      - .offset:         56
        .size:           8
        .value_kind:     by_value
      - .offset:         64
        .size:           8
        .value_kind:     by_value
      - .offset:         72
        .size:           8
        .value_kind:     by_value
      - .offset:         80
        .size:           8
        .value_kind:     by_value
      - .offset:         88
        .size:           8
        .value_kind:     by_value
      - .offset:         96
        .size:           8
        .value_kind:     by_value
      - .offset:         104
        .size:           8
        .value_kind:     by_value
      - .address_space:  global
        .offset:         112
        .size:           8
        .value_kind:     global_buffer
      - .offset:         120
        .size:           4
        .value_kind:     hidden_block_count_x
      - .offset:         124
        .size:           4
        .value_kind:     hidden_block_count_y
      - .offset:         128
        .size:           4
        .value_kind:     hidden_block_count_z
      - .offset:         132
        .size:           2
        .value_kind:     hidden_group_size_x
      - .offset:         134
        .size:           2
        .value_kind:     hidden_group_size_y
      - .offset:         136
        .size:           2
        .value_kind:     hidden_group_size_z
      - .offset:         138
        .size:           2
        .value_kind:     hidden_remainder_x
      - .offset:         140
        .size:           2
        .value_kind:     hidden_remainder_y
      - .offset:         142
        .size:           2
        .value_kind:     hidden_remainder_z
      - .offset:         160
        .size:           8
        .value_kind:     hidden_global_offset_x
      - .offset:         168
        .size:           8
        .value_kind:     hidden_global_offset_y
      - .offset:         176
        .size:           8
        .value_kind:     hidden_global_offset_z
      - .offset:         184
        .size:           2
        .value_kind:     hidden_grid_dims
    .group_segment_fixed_size: 0
    .kernarg_segment_align: 8
    .kernarg_segment_size: 376
    .language:       OpenCL C
    .language_version:
      - 2
      - 0
    .max_flat_workgroup_size: 1024
    .name:           _ZN2at6native13im2col_kernelIdEEvlPKT_llllllllllllPS2_
    .private_segment_fixed_size: 0
    .sgpr_count:     65
    .sgpr_spill_count: 0
    .symbol:         _ZN2at6native13im2col_kernelIdEEvlPKT_llllllllllllPS2_.kd
    .uniform_work_group_size: 1
    .uses_dynamic_stack: false
    .vgpr_count:     24
    .vgpr_spill_count: 0
    .wavefront_size: 32
    .workgroup_processor_mode: 1
  - .args:
      - .offset:         0
        .size:           8
        .value_kind:     by_value
      - .address_space:  global
        .offset:         8
        .size:           8
        .value_kind:     global_buffer
      - .offset:         16
        .size:           8
        .value_kind:     by_value
      - .offset:         24
        .size:           8
        .value_kind:     by_value
      - .offset:         32
        .size:           8
        .value_kind:     by_value
      - .offset:         40
        .size:           8
        .value_kind:     by_value
      - .offset:         48
        .size:           8
        .value_kind:     by_value
      - .offset:         56
        .size:           8
        .value_kind:     by_value
      - .offset:         64
        .size:           8
        .value_kind:     by_value
      - .offset:         72
        .size:           8
        .value_kind:     by_value
      - .offset:         80
        .size:           8
        .value_kind:     by_value
      - .offset:         88
        .size:           8
        .value_kind:     by_value
      - .offset:         96
        .size:           8
        .value_kind:     by_value
      - .offset:         104
        .size:           8
        .value_kind:     by_value
      - .address_space:  global
        .offset:         112
        .size:           8
        .value_kind:     global_buffer
      - .offset:         120
        .size:           4
        .value_kind:     hidden_block_count_x
      - .offset:         124
        .size:           4
        .value_kind:     hidden_block_count_y
      - .offset:         128
        .size:           4
        .value_kind:     hidden_block_count_z
      - .offset:         132
        .size:           2
        .value_kind:     hidden_group_size_x
      - .offset:         134
        .size:           2
        .value_kind:     hidden_group_size_y
      - .offset:         136
        .size:           2
        .value_kind:     hidden_group_size_z
      - .offset:         138
        .size:           2
        .value_kind:     hidden_remainder_x
      - .offset:         140
        .size:           2
        .value_kind:     hidden_remainder_y
      - .offset:         142
        .size:           2
        .value_kind:     hidden_remainder_z
      - .offset:         160
        .size:           8
        .value_kind:     hidden_global_offset_x
      - .offset:         168
        .size:           8
        .value_kind:     hidden_global_offset_y
      - .offset:         176
        .size:           8
        .value_kind:     hidden_global_offset_z
      - .offset:         184
        .size:           2
        .value_kind:     hidden_grid_dims
    .group_segment_fixed_size: 0
    .kernarg_segment_align: 8
    .kernarg_segment_size: 376
    .language:       OpenCL C
    .language_version:
      - 2
      - 0
    .max_flat_workgroup_size: 1024
    .name:           _ZN2at6native13im2col_kernelIfEEvlPKT_llllllllllllPS2_
    .private_segment_fixed_size: 0
    .sgpr_count:     65
    .sgpr_spill_count: 0
    .symbol:         _ZN2at6native13im2col_kernelIfEEvlPKT_llllllllllllPS2_.kd
    .uniform_work_group_size: 1
    .uses_dynamic_stack: false
    .vgpr_count:     24
    .vgpr_spill_count: 0
    .wavefront_size: 32
    .workgroup_processor_mode: 1
  - .args:
      - .offset:         0
        .size:           8
        .value_kind:     by_value
      - .address_space:  global
        .offset:         8
        .size:           8
        .value_kind:     global_buffer
      - .offset:         16
        .size:           8
        .value_kind:     by_value
      - .offset:         24
        .size:           8
        .value_kind:     by_value
      - .offset:         32
        .size:           8
        .value_kind:     by_value
      - .offset:         40
        .size:           8
        .value_kind:     by_value
      - .offset:         48
        .size:           8
        .value_kind:     by_value
      - .offset:         56
        .size:           8
        .value_kind:     by_value
      - .offset:         64
        .size:           8
        .value_kind:     by_value
      - .offset:         72
        .size:           8
        .value_kind:     by_value
      - .offset:         80
        .size:           8
        .value_kind:     by_value
      - .offset:         88
        .size:           8
        .value_kind:     by_value
      - .offset:         96
        .size:           8
        .value_kind:     by_value
      - .offset:         104
        .size:           8
        .value_kind:     by_value
      - .address_space:  global
        .offset:         112
        .size:           8
        .value_kind:     global_buffer
      - .offset:         120
        .size:           4
        .value_kind:     hidden_block_count_x
      - .offset:         124
        .size:           4
        .value_kind:     hidden_block_count_y
      - .offset:         128
        .size:           4
        .value_kind:     hidden_block_count_z
      - .offset:         132
        .size:           2
        .value_kind:     hidden_group_size_x
      - .offset:         134
        .size:           2
        .value_kind:     hidden_group_size_y
      - .offset:         136
        .size:           2
        .value_kind:     hidden_group_size_z
      - .offset:         138
        .size:           2
        .value_kind:     hidden_remainder_x
      - .offset:         140
        .size:           2
        .value_kind:     hidden_remainder_y
      - .offset:         142
        .size:           2
        .value_kind:     hidden_remainder_z
      - .offset:         160
        .size:           8
        .value_kind:     hidden_global_offset_x
      - .offset:         168
        .size:           8
        .value_kind:     hidden_global_offset_y
      - .offset:         176
        .size:           8
        .value_kind:     hidden_global_offset_z
      - .offset:         184
        .size:           2
        .value_kind:     hidden_grid_dims
    .group_segment_fixed_size: 0
    .kernarg_segment_align: 8
    .kernarg_segment_size: 376
    .language:       OpenCL C
    .language_version:
      - 2
      - 0
    .max_flat_workgroup_size: 1024
    .name:           _ZN2at6native13im2col_kernelIN3c107complexIdEEEEvlPKT_llllllllllllPS5_
    .private_segment_fixed_size: 0
    .sgpr_count:     65
    .sgpr_spill_count: 0
    .symbol:         _ZN2at6native13im2col_kernelIN3c107complexIdEEEEvlPKT_llllllllllllPS5_.kd
    .uniform_work_group_size: 1
    .uses_dynamic_stack: false
    .vgpr_count:     24
    .vgpr_spill_count: 0
    .wavefront_size: 32
    .workgroup_processor_mode: 1
  - .args:
      - .offset:         0
        .size:           8
        .value_kind:     by_value
      - .address_space:  global
        .offset:         8
        .size:           8
        .value_kind:     global_buffer
      - .offset:         16
        .size:           8
        .value_kind:     by_value
      - .offset:         24
        .size:           8
        .value_kind:     by_value
      - .offset:         32
        .size:           8
        .value_kind:     by_value
      - .offset:         40
        .size:           8
        .value_kind:     by_value
      - .offset:         48
        .size:           8
        .value_kind:     by_value
      - .offset:         56
        .size:           8
        .value_kind:     by_value
      - .offset:         64
        .size:           8
        .value_kind:     by_value
      - .offset:         72
        .size:           8
        .value_kind:     by_value
      - .offset:         80
        .size:           8
        .value_kind:     by_value
      - .offset:         88
        .size:           8
        .value_kind:     by_value
      - .offset:         96
        .size:           8
        .value_kind:     by_value
      - .offset:         104
        .size:           8
        .value_kind:     by_value
      - .address_space:  global
        .offset:         112
        .size:           8
        .value_kind:     global_buffer
      - .offset:         120
        .size:           4
        .value_kind:     hidden_block_count_x
      - .offset:         124
        .size:           4
        .value_kind:     hidden_block_count_y
      - .offset:         128
        .size:           4
        .value_kind:     hidden_block_count_z
      - .offset:         132
        .size:           2
        .value_kind:     hidden_group_size_x
      - .offset:         134
        .size:           2
        .value_kind:     hidden_group_size_y
      - .offset:         136
        .size:           2
        .value_kind:     hidden_group_size_z
      - .offset:         138
        .size:           2
        .value_kind:     hidden_remainder_x
      - .offset:         140
        .size:           2
        .value_kind:     hidden_remainder_y
      - .offset:         142
        .size:           2
        .value_kind:     hidden_remainder_z
      - .offset:         160
        .size:           8
        .value_kind:     hidden_global_offset_x
      - .offset:         168
        .size:           8
        .value_kind:     hidden_global_offset_y
      - .offset:         176
        .size:           8
        .value_kind:     hidden_global_offset_z
      - .offset:         184
        .size:           2
        .value_kind:     hidden_grid_dims
    .group_segment_fixed_size: 0
    .kernarg_segment_align: 8
    .kernarg_segment_size: 376
    .language:       OpenCL C
    .language_version:
      - 2
      - 0
    .max_flat_workgroup_size: 1024
    .name:           _ZN2at6native13im2col_kernelIN3c107complexIfEEEEvlPKT_llllllllllllPS5_
    .private_segment_fixed_size: 0
    .sgpr_count:     65
    .sgpr_spill_count: 0
    .symbol:         _ZN2at6native13im2col_kernelIN3c107complexIfEEEEvlPKT_llllllllllllPS5_.kd
    .uniform_work_group_size: 1
    .uses_dynamic_stack: false
    .vgpr_count:     24
    .vgpr_spill_count: 0
    .wavefront_size: 32
    .workgroup_processor_mode: 1
  - .args:
      - .offset:         0
        .size:           8
        .value_kind:     by_value
      - .address_space:  global
        .offset:         8
        .size:           8
        .value_kind:     global_buffer
      - .offset:         16
        .size:           8
        .value_kind:     by_value
      - .offset:         24
        .size:           8
        .value_kind:     by_value
      - .offset:         32
        .size:           8
        .value_kind:     by_value
      - .offset:         40
        .size:           8
        .value_kind:     by_value
      - .offset:         48
        .size:           8
        .value_kind:     by_value
      - .offset:         56
        .size:           8
        .value_kind:     by_value
      - .offset:         64
        .size:           8
        .value_kind:     by_value
      - .offset:         72
        .size:           8
        .value_kind:     by_value
      - .offset:         80
        .size:           8
        .value_kind:     by_value
      - .offset:         88
        .size:           8
        .value_kind:     by_value
      - .offset:         96
        .size:           8
        .value_kind:     by_value
      - .offset:         104
        .size:           8
        .value_kind:     by_value
      - .address_space:  global
        .offset:         112
        .size:           8
        .value_kind:     global_buffer
      - .offset:         120
        .size:           4
        .value_kind:     hidden_block_count_x
      - .offset:         124
        .size:           4
        .value_kind:     hidden_block_count_y
      - .offset:         128
        .size:           4
        .value_kind:     hidden_block_count_z
      - .offset:         132
        .size:           2
        .value_kind:     hidden_group_size_x
      - .offset:         134
        .size:           2
        .value_kind:     hidden_group_size_y
      - .offset:         136
        .size:           2
        .value_kind:     hidden_group_size_z
      - .offset:         138
        .size:           2
        .value_kind:     hidden_remainder_x
      - .offset:         140
        .size:           2
        .value_kind:     hidden_remainder_y
      - .offset:         142
        .size:           2
        .value_kind:     hidden_remainder_z
      - .offset:         160
        .size:           8
        .value_kind:     hidden_global_offset_x
      - .offset:         168
        .size:           8
        .value_kind:     hidden_global_offset_y
      - .offset:         176
        .size:           8
        .value_kind:     hidden_global_offset_z
      - .offset:         184
        .size:           2
        .value_kind:     hidden_grid_dims
    .group_segment_fixed_size: 0
    .kernarg_segment_align: 8
    .kernarg_segment_size: 376
    .language:       OpenCL C
    .language_version:
      - 2
      - 0
    .max_flat_workgroup_size: 1024
    .name:           _ZN2at6native13im2col_kernelIN3c104HalfEEEvlPKT_llllllllllllPS4_
    .private_segment_fixed_size: 0
    .sgpr_count:     65
    .sgpr_spill_count: 0
    .symbol:         _ZN2at6native13im2col_kernelIN3c104HalfEEEvlPKT_llllllllllllPS4_.kd
    .uniform_work_group_size: 1
    .uses_dynamic_stack: false
    .vgpr_count:     24
    .vgpr_spill_count: 0
    .wavefront_size: 32
    .workgroup_processor_mode: 1
  - .args:
      - .offset:         0
        .size:           8
        .value_kind:     by_value
      - .address_space:  global
        .offset:         8
        .size:           8
        .value_kind:     global_buffer
      - .offset:         16
        .size:           8
        .value_kind:     by_value
      - .offset:         24
        .size:           8
        .value_kind:     by_value
      - .offset:         32
        .size:           8
        .value_kind:     by_value
      - .offset:         40
        .size:           8
        .value_kind:     by_value
      - .offset:         48
        .size:           8
        .value_kind:     by_value
      - .offset:         56
        .size:           8
        .value_kind:     by_value
      - .offset:         64
        .size:           8
        .value_kind:     by_value
      - .offset:         72
        .size:           8
        .value_kind:     by_value
      - .offset:         80
        .size:           8
        .value_kind:     by_value
      - .offset:         88
        .size:           8
        .value_kind:     by_value
      - .offset:         96
        .size:           8
        .value_kind:     by_value
      - .offset:         104
        .size:           8
        .value_kind:     by_value
      - .address_space:  global
        .offset:         112
        .size:           8
        .value_kind:     global_buffer
      - .offset:         120
        .size:           4
        .value_kind:     hidden_block_count_x
      - .offset:         124
        .size:           4
        .value_kind:     hidden_block_count_y
      - .offset:         128
        .size:           4
        .value_kind:     hidden_block_count_z
      - .offset:         132
        .size:           2
        .value_kind:     hidden_group_size_x
      - .offset:         134
        .size:           2
        .value_kind:     hidden_group_size_y
      - .offset:         136
        .size:           2
        .value_kind:     hidden_group_size_z
      - .offset:         138
        .size:           2
        .value_kind:     hidden_remainder_x
      - .offset:         140
        .size:           2
        .value_kind:     hidden_remainder_y
      - .offset:         142
        .size:           2
        .value_kind:     hidden_remainder_z
      - .offset:         160
        .size:           8
        .value_kind:     hidden_global_offset_x
      - .offset:         168
        .size:           8
        .value_kind:     hidden_global_offset_y
      - .offset:         176
        .size:           8
        .value_kind:     hidden_global_offset_z
      - .offset:         184
        .size:           2
        .value_kind:     hidden_grid_dims
    .group_segment_fixed_size: 0
    .kernarg_segment_align: 8
    .kernarg_segment_size: 376
    .language:       OpenCL C
    .language_version:
      - 2
      - 0
    .max_flat_workgroup_size: 1024
    .name:           _ZN2at6native13im2col_kernelIN3c108BFloat16EEEvlPKT_llllllllllllPS4_
    .private_segment_fixed_size: 0
    .sgpr_count:     65
    .sgpr_spill_count: 0
    .symbol:         _ZN2at6native13im2col_kernelIN3c108BFloat16EEEvlPKT_llllllllllllPS4_.kd
    .uniform_work_group_size: 1
    .uses_dynamic_stack: false
    .vgpr_count:     24
    .vgpr_spill_count: 0
    .wavefront_size: 32
    .workgroup_processor_mode: 1
  - .args:
      - .offset:         0
        .size:           8
        .value_kind:     by_value
      - .address_space:  global
        .offset:         8
        .size:           8
        .value_kind:     global_buffer
      - .offset:         16
        .size:           8
        .value_kind:     by_value
      - .offset:         24
        .size:           8
        .value_kind:     by_value
      - .offset:         32
        .size:           8
        .value_kind:     by_value
      - .offset:         40
        .size:           8
        .value_kind:     by_value
      - .offset:         48
        .size:           8
        .value_kind:     by_value
      - .offset:         56
        .size:           8
        .value_kind:     by_value
      - .offset:         64
        .size:           8
        .value_kind:     by_value
      - .offset:         72
        .size:           8
        .value_kind:     by_value
      - .offset:         80
        .size:           8
        .value_kind:     by_value
      - .offset:         88
        .size:           8
        .value_kind:     by_value
      - .offset:         96
        .size:           8
        .value_kind:     by_value
      - .offset:         104
        .size:           8
        .value_kind:     by_value
      - .address_space:  global
        .offset:         112
        .size:           8
        .value_kind:     global_buffer
      - .offset:         120
        .size:           4
        .value_kind:     hidden_block_count_x
      - .offset:         124
        .size:           4
        .value_kind:     hidden_block_count_y
      - .offset:         128
        .size:           4
        .value_kind:     hidden_block_count_z
      - .offset:         132
        .size:           2
        .value_kind:     hidden_group_size_x
      - .offset:         134
        .size:           2
        .value_kind:     hidden_group_size_y
      - .offset:         136
        .size:           2
        .value_kind:     hidden_group_size_z
      - .offset:         138
        .size:           2
        .value_kind:     hidden_remainder_x
      - .offset:         140
        .size:           2
        .value_kind:     hidden_remainder_y
      - .offset:         142
        .size:           2
        .value_kind:     hidden_remainder_z
      - .offset:         160
        .size:           8
        .value_kind:     hidden_global_offset_x
      - .offset:         168
        .size:           8
        .value_kind:     hidden_global_offset_y
      - .offset:         176
        .size:           8
        .value_kind:     hidden_global_offset_z
      - .offset:         184
        .size:           2
        .value_kind:     hidden_grid_dims
    .group_segment_fixed_size: 0
    .kernarg_segment_align: 8
    .kernarg_segment_size: 376
    .language:       OpenCL C
    .language_version:
      - 2
      - 0
    .max_flat_workgroup_size: 1024
    .name:           _ZN2at6native13im2col_kernelIbEEvlPKT_llllllllllllPS2_
    .private_segment_fixed_size: 0
    .sgpr_count:     59
    .sgpr_spill_count: 0
    .symbol:         _ZN2at6native13im2col_kernelIbEEvlPKT_llllllllllllPS2_.kd
    .uniform_work_group_size: 1
    .uses_dynamic_stack: false
    .vgpr_count:     22
    .vgpr_spill_count: 0
    .wavefront_size: 32
    .workgroup_processor_mode: 1
amdhsa.target:   amdgcn-amd-amdhsa--gfx1030
amdhsa.version:
  - 1
  - 2
...

	.end_amdgpu_metadata
